;; amdgpu-corpus repo=ROCm/rocFFT kind=compiled arch=gfx1030 opt=O3
	.text
	.amdgcn_target "amdgcn-amd-amdhsa--gfx1030"
	.amdhsa_code_object_version 6
	.protected	fft_rtc_fwd_len289_factors_17_17_wgs_119_tpt_17_sp_ip_CI_sbcc_twdbase8_3step ; -- Begin function fft_rtc_fwd_len289_factors_17_17_wgs_119_tpt_17_sp_ip_CI_sbcc_twdbase8_3step
	.globl	fft_rtc_fwd_len289_factors_17_17_wgs_119_tpt_17_sp_ip_CI_sbcc_twdbase8_3step
	.p2align	8
	.type	fft_rtc_fwd_len289_factors_17_17_wgs_119_tpt_17_sp_ip_CI_sbcc_twdbase8_3step,@function
fft_rtc_fwd_len289_factors_17_17_wgs_119_tpt_17_sp_ip_CI_sbcc_twdbase8_3step: ; @fft_rtc_fwd_len289_factors_17_17_wgs_119_tpt_17_sp_ip_CI_sbcc_twdbase8_3step
; %bb.0:
	s_load_dwordx4 s[12:15], s[4:5], 0x18
	s_mov_b64 s[22:23], 0
	s_waitcnt lgkmcnt(0)
	s_load_dwordx2 s[18:19], s[12:13], 0x8
	s_waitcnt lgkmcnt(0)
	s_add_u32 s0, s18, -1
	s_addc_u32 s1, s19, -1
	s_add_u32 s2, 0, 0x92481000
	s_addc_u32 s3, 0, 0x64
	s_mul_hi_u32 s8, s2, -7
	s_add_i32 s3, s3, 0x249248c0
	s_sub_i32 s8, s8, s2
	s_mul_i32 s10, s3, -7
	s_mul_i32 s7, s2, -7
	s_add_i32 s8, s8, s10
	s_mul_hi_u32 s9, s2, s7
	s_mul_i32 s16, s2, s8
	s_mul_hi_u32 s10, s2, s8
	s_mul_hi_u32 s11, s3, s7
	s_mul_i32 s7, s3, s7
	s_add_u32 s9, s9, s16
	s_addc_u32 s10, 0, s10
	s_mul_hi_u32 s17, s3, s8
	s_add_u32 s7, s9, s7
	s_mul_i32 s8, s3, s8
	s_addc_u32 s7, s10, s11
	s_addc_u32 s9, s17, 0
	s_add_u32 s7, s7, s8
	v_add_co_u32 v1, s2, s2, s7
	s_addc_u32 s7, 0, s9
	s_cmp_lg_u32 s2, 0
	s_addc_u32 s2, s3, s7
	v_readfirstlane_b32 s3, v1
	s_mul_i32 s8, s0, s2
	s_mul_hi_u32 s7, s0, s2
	s_mul_hi_u32 s9, s1, s2
	s_mul_i32 s2, s1, s2
	s_mul_hi_u32 s10, s0, s3
	s_mul_hi_u32 s11, s1, s3
	s_mul_i32 s3, s1, s3
	s_add_u32 s8, s10, s8
	s_addc_u32 s7, 0, s7
	s_add_u32 s3, s8, s3
	s_addc_u32 s3, s7, s11
	s_addc_u32 s7, s9, 0
	s_add_u32 s2, s3, s2
	s_addc_u32 s3, 0, s7
	s_mul_i32 s8, s2, 7
	s_add_u32 s7, s2, 1
	v_sub_co_u32 v1, s0, s0, s8
	s_mul_hi_u32 s8, s2, 7
	s_addc_u32 s9, s3, 0
	s_mul_i32 s10, s3, 7
	v_sub_co_u32 v2, s11, v1, 7
	s_add_u32 s16, s2, 2
	s_addc_u32 s17, s3, 0
	s_add_i32 s8, s8, s10
	s_cmp_lg_u32 s0, 0
	v_readfirstlane_b32 s0, v2
	s_subb_u32 s1, s1, s8
	s_cmp_lg_u32 s11, 0
	s_subb_u32 s8, s1, 0
	s_cmp_gt_u32 s0, 6
	s_cselect_b32 s0, -1, 0
	s_cmp_eq_u32 s8, 0
	v_readfirstlane_b32 s8, v1
	s_cselect_b32 s0, s0, -1
	s_cmp_lg_u32 s0, 0
	s_cselect_b32 s0, s16, s7
	s_cselect_b32 s9, s17, s9
	s_cmp_gt_u32 s8, 6
	s_cselect_b32 s7, -1, 0
	s_cmp_eq_u32 s1, 0
	s_cselect_b32 s1, s7, -1
	s_mov_b32 s7, 0
	s_cmp_lg_u32 s1, 0
	s_cselect_b32 s0, s0, s2
	s_cselect_b32 s1, s9, s3
	s_add_u32 s20, s0, 1
	s_addc_u32 s21, s1, 0
	v_cmp_lt_u64_e64 s0, s[6:7], s[20:21]
	s_and_b32 vcc_lo, exec_lo, s0
	s_cbranch_vccnz .LBB0_2
; %bb.1:
	v_cvt_f32_u32_e32 v1, s20
	s_sub_i32 s1, 0, s20
	s_mov_b32 s23, s7
	v_rcp_iflag_f32_e32 v1, v1
	v_mul_f32_e32 v1, 0x4f7ffffe, v1
	v_cvt_u32_f32_e32 v1, v1
	v_readfirstlane_b32 s0, v1
	s_mul_i32 s1, s1, s0
	s_mul_hi_u32 s1, s0, s1
	s_add_i32 s0, s0, s1
	s_mul_hi_u32 s0, s6, s0
	s_mul_i32 s1, s0, s20
	s_add_i32 s2, s0, 1
	s_sub_i32 s1, s6, s1
	s_sub_i32 s3, s1, s20
	s_cmp_ge_u32 s1, s20
	s_cselect_b32 s0, s2, s0
	s_cselect_b32 s1, s3, s1
	s_add_i32 s2, s0, 1
	s_cmp_ge_u32 s1, s20
	s_cselect_b32 s22, s2, s0
.LBB0_2:
	s_load_dwordx4 s[0:3], s[14:15], 0x0
	s_clause 0x2
	s_load_dwordx4 s[8:11], s[4:5], 0x8
	s_load_dwordx2 s[16:17], s[4:5], 0x0
	s_load_dwordx2 s[4:5], s[4:5], 0x58
	s_mul_i32 s24, s22, s21
	s_mul_hi_u32 s25, s22, s20
	s_mul_i32 s26, s22, s20
	s_add_i32 s25, s25, s24
	s_sub_u32 s36, s6, s26
	s_subb_u32 s24, 0, s25
	s_mul_hi_u32 s33, s36, 7
	s_mul_i32 s24, s24, 7
	s_mul_i32 s36, s36, 7
	s_add_i32 s33, s33, s24
	s_waitcnt lgkmcnt(0)
	s_mul_i32 s24, s2, s33
	v_cmp_lt_u64_e64 s26, s[10:11], 3
	s_mul_hi_u32 s25, s2, s36
	s_mul_i32 s38, s2, s36
	s_add_i32 s24, s25, s24
	s_mul_i32 s25, s3, s36
	s_add_i32 s37, s24, s25
	s_and_b32 vcc_lo, exec_lo, s26
	s_cbranch_vccnz .LBB0_12
; %bb.3:
	s_add_u32 s24, s14, 16
	s_addc_u32 s25, s15, 0
	s_add_u32 s12, s12, 16
	s_addc_u32 s13, s13, 0
	s_mov_b64 s[26:27], 2
	s_mov_b32 s28, 0
.LBB0_4:                                ; =>This Inner Loop Header: Depth=1
	s_load_dwordx2 s[30:31], s[12:13], 0x0
	s_waitcnt lgkmcnt(0)
	s_or_b64 s[34:35], s[22:23], s[30:31]
	s_mov_b32 s29, s35
                                        ; implicit-def: $sgpr34_sgpr35
	s_cmp_lg_u64 s[28:29], 0
	s_mov_b32 s29, -1
	s_cbranch_scc0 .LBB0_6
; %bb.5:                                ;   in Loop: Header=BB0_4 Depth=1
	v_cvt_f32_u32_e32 v1, s30
	v_cvt_f32_u32_e32 v2, s31
	s_sub_u32 s35, 0, s30
	s_subb_u32 s39, 0, s31
	v_fmac_f32_e32 v1, 0x4f800000, v2
	v_rcp_f32_e32 v1, v1
	v_mul_f32_e32 v1, 0x5f7ffffc, v1
	v_mul_f32_e32 v2, 0x2f800000, v1
	v_trunc_f32_e32 v2, v2
	v_fmac_f32_e32 v1, 0xcf800000, v2
	v_cvt_u32_f32_e32 v2, v2
	v_cvt_u32_f32_e32 v1, v1
	v_readfirstlane_b32 s29, v2
	v_readfirstlane_b32 s34, v1
	s_mul_i32 s40, s35, s29
	s_mul_hi_u32 s42, s35, s34
	s_mul_i32 s41, s39, s34
	s_add_i32 s40, s42, s40
	s_mul_i32 s43, s35, s34
	s_add_i32 s40, s40, s41
	s_mul_hi_u32 s42, s34, s43
	s_mul_hi_u32 s44, s29, s43
	s_mul_i32 s41, s29, s43
	s_mul_hi_u32 s43, s34, s40
	s_mul_i32 s34, s34, s40
	s_mul_hi_u32 s45, s29, s40
	s_add_u32 s34, s42, s34
	s_addc_u32 s42, 0, s43
	s_add_u32 s34, s34, s41
	s_mul_i32 s40, s29, s40
	s_addc_u32 s34, s42, s44
	s_addc_u32 s41, s45, 0
	s_add_u32 s34, s34, s40
	s_addc_u32 s40, 0, s41
	v_add_co_u32 v1, s34, v1, s34
	s_cmp_lg_u32 s34, 0
	s_addc_u32 s29, s29, s40
	v_readfirstlane_b32 s34, v1
	s_mul_i32 s40, s35, s29
	s_mul_hi_u32 s41, s35, s34
	s_mul_i32 s39, s39, s34
	s_add_i32 s40, s41, s40
	s_mul_i32 s35, s35, s34
	s_add_i32 s40, s40, s39
	s_mul_hi_u32 s41, s29, s35
	s_mul_i32 s42, s29, s35
	s_mul_hi_u32 s35, s34, s35
	s_mul_hi_u32 s43, s34, s40
	s_mul_i32 s34, s34, s40
	s_mul_hi_u32 s39, s29, s40
	s_add_u32 s34, s35, s34
	s_addc_u32 s35, 0, s43
	s_add_u32 s34, s34, s42
	s_mul_i32 s40, s29, s40
	s_addc_u32 s34, s35, s41
	s_addc_u32 s35, s39, 0
	s_add_u32 s34, s34, s40
	s_addc_u32 s35, 0, s35
	v_add_co_u32 v1, s34, v1, s34
	s_cmp_lg_u32 s34, 0
	s_addc_u32 s29, s29, s35
	v_readfirstlane_b32 s34, v1
	s_mul_i32 s39, s22, s29
	s_mul_hi_u32 s35, s22, s29
	s_mul_hi_u32 s40, s23, s29
	s_mul_i32 s29, s23, s29
	s_mul_hi_u32 s41, s22, s34
	s_mul_hi_u32 s42, s23, s34
	s_mul_i32 s34, s23, s34
	s_add_u32 s39, s41, s39
	s_addc_u32 s35, 0, s35
	s_add_u32 s34, s39, s34
	s_addc_u32 s34, s35, s42
	s_addc_u32 s35, s40, 0
	s_add_u32 s34, s34, s29
	s_addc_u32 s35, 0, s35
	s_mul_hi_u32 s29, s30, s34
	s_mul_i32 s40, s30, s35
	s_mul_i32 s41, s30, s34
	s_add_i32 s29, s29, s40
	v_sub_co_u32 v1, s40, s22, s41
	s_mul_i32 s39, s31, s34
	s_add_i32 s29, s29, s39
	v_sub_co_u32 v2, s41, v1, s30
	s_sub_i32 s39, s23, s29
	s_cmp_lg_u32 s40, 0
	s_subb_u32 s39, s39, s31
	s_cmp_lg_u32 s41, 0
	v_readfirstlane_b32 s41, v2
	s_subb_u32 s39, s39, 0
	s_cmp_ge_u32 s39, s31
	s_cselect_b32 s42, -1, 0
	s_cmp_ge_u32 s41, s30
	s_cselect_b32 s41, -1, 0
	s_cmp_eq_u32 s39, s31
	s_cselect_b32 s39, s41, s42
	s_add_u32 s41, s34, 1
	s_addc_u32 s42, s35, 0
	s_add_u32 s43, s34, 2
	s_addc_u32 s44, s35, 0
	s_cmp_lg_u32 s39, 0
	s_cselect_b32 s39, s43, s41
	s_cselect_b32 s41, s44, s42
	s_cmp_lg_u32 s40, 0
	v_readfirstlane_b32 s40, v1
	s_subb_u32 s29, s23, s29
	s_cmp_ge_u32 s29, s31
	s_cselect_b32 s42, -1, 0
	s_cmp_ge_u32 s40, s30
	s_cselect_b32 s40, -1, 0
	s_cmp_eq_u32 s29, s31
	s_cselect_b32 s29, s40, s42
	s_cmp_lg_u32 s29, 0
	s_mov_b32 s29, 0
	s_cselect_b32 s35, s41, s35
	s_cselect_b32 s34, s39, s34
.LBB0_6:                                ;   in Loop: Header=BB0_4 Depth=1
	s_andn2_b32 vcc_lo, exec_lo, s29
	s_cbranch_vccnz .LBB0_8
; %bb.7:                                ;   in Loop: Header=BB0_4 Depth=1
	v_cvt_f32_u32_e32 v1, s30
	s_sub_i32 s34, 0, s30
	v_rcp_iflag_f32_e32 v1, v1
	v_mul_f32_e32 v1, 0x4f7ffffe, v1
	v_cvt_u32_f32_e32 v1, v1
	v_readfirstlane_b32 s29, v1
	s_mul_i32 s34, s34, s29
	s_mul_hi_u32 s34, s29, s34
	s_add_i32 s29, s29, s34
	s_mul_hi_u32 s29, s22, s29
	s_mul_i32 s34, s29, s30
	s_add_i32 s35, s29, 1
	s_sub_i32 s34, s22, s34
	s_sub_i32 s39, s34, s30
	s_cmp_ge_u32 s34, s30
	s_cselect_b32 s29, s35, s29
	s_cselect_b32 s34, s39, s34
	s_add_i32 s35, s29, 1
	s_cmp_ge_u32 s34, s30
	s_cselect_b32 s34, s35, s29
	s_mov_b32 s35, s28
.LBB0_8:                                ;   in Loop: Header=BB0_4 Depth=1
	s_load_dwordx2 s[40:41], s[24:25], 0x0
	s_mul_i32 s21, s30, s21
	s_mul_hi_u32 s29, s30, s20
	s_mul_i32 s39, s31, s20
	s_mul_i32 s31, s34, s31
	s_mul_hi_u32 s42, s34, s30
	s_mul_i32 s43, s35, s30
	s_add_i32 s21, s29, s21
	s_add_i32 s29, s42, s31
	s_mul_i32 s44, s34, s30
	s_add_i32 s21, s21, s39
	s_add_i32 s29, s29, s43
	s_sub_u32 s22, s22, s44
	s_subb_u32 s23, s23, s29
	s_mul_i32 s20, s30, s20
	s_waitcnt lgkmcnt(0)
	s_mul_i32 s23, s40, s23
	s_mul_hi_u32 s29, s40, s22
	s_add_i32 s23, s29, s23
	s_mul_i32 s29, s41, s22
	s_mul_i32 s22, s40, s22
	s_add_i32 s23, s23, s29
	s_add_u32 s38, s22, s38
	s_addc_u32 s37, s23, s37
	s_add_u32 s26, s26, 1
	s_addc_u32 s27, s27, 0
	s_add_u32 s24, s24, 8
	v_cmp_ge_u64_e64 s22, s[26:27], s[10:11]
	s_addc_u32 s25, s25, 0
	s_add_u32 s12, s12, 8
	s_addc_u32 s13, s13, 0
	s_and_b32 vcc_lo, exec_lo, s22
	s_cbranch_vccnz .LBB0_10
; %bb.9:                                ;   in Loop: Header=BB0_4 Depth=1
	s_mov_b64 s[22:23], s[34:35]
	s_branch .LBB0_4
.LBB0_10:
	v_cmp_lt_u64_e64 s7, s[6:7], s[20:21]
	s_mov_b64 s[22:23], 0
	s_and_b32 vcc_lo, exec_lo, s7
	s_cbranch_vccnz .LBB0_12
; %bb.11:
	v_cvt_f32_u32_e32 v1, s20
	s_sub_i32 s12, 0, s20
	v_rcp_iflag_f32_e32 v1, v1
	v_mul_f32_e32 v1, 0x4f7ffffe, v1
	v_cvt_u32_f32_e32 v1, v1
	v_readfirstlane_b32 s7, v1
	s_mul_i32 s12, s12, s7
	s_mul_hi_u32 s12, s7, s12
	s_add_i32 s7, s7, s12
	s_mul_hi_u32 s7, s6, s7
	s_mul_i32 s12, s7, s20
	s_sub_i32 s6, s6, s12
	s_add_i32 s12, s7, 1
	s_sub_i32 s13, s6, s20
	s_cmp_ge_u32 s6, s20
	s_cselect_b32 s7, s12, s7
	s_cselect_b32 s6, s13, s6
	s_add_i32 s12, s7, 1
	s_cmp_ge_u32 s6, s20
	s_cselect_b32 s22, s12, s7
.LBB0_12:
	s_lshl_b64 s[6:7], s[10:11], 3
	v_mul_u32_u24_e32 v1, 0x2493, v0
	s_add_u32 s6, s14, s6
	s_addc_u32 s7, s15, s7
	s_load_dwordx2 s[6:7], s[6:7], 0x0
	v_lshrrev_b32_e32 v108, 16, v1
	v_mul_lo_u16 v1, v108, 7
	v_lshlrev_b32_e32 v109, 3, v108
	v_add_nc_u32_e32 v107, 17, v108
	v_add_nc_u32_e32 v106, 34, v108
	;; [unrolled: 1-line block ×3, first 2 shown]
	v_sub_nc_u16 v1, v0, v1
	v_add_nc_u32_e32 v104, 0x44, v108
	v_add_nc_u32_e32 v103, 0x55, v108
	;; [unrolled: 1-line block ×4, first 2 shown]
	v_and_b32_e32 v110, 0xffff, v1
	v_add_nc_u32_e32 v100, 0x88, v108
	v_add_nc_u32_e32 v99, 0x99, v108
	;; [unrolled: 1-line block ×3, first 2 shown]
	s_waitcnt lgkmcnt(0)
	s_mul_i32 s7, s7, s22
	s_mul_hi_u32 s10, s6, s22
	s_mul_i32 s6, s6, s22
	v_add_co_u32 v1, s11, s36, v110
	s_add_i32 s10, s10, s7
	v_add_co_ci_u32_e64 v2, null, s33, 0, s11
	s_add_u32 s6, s6, s38
	s_addc_u32 s7, s10, s37
	s_add_u32 s10, s36, 7
	s_addc_u32 s11, s33, 0
	v_cmp_gt_u64_e32 vcc_lo, s[18:19], v[1:2]
	v_cmp_le_u64_e64 s10, s[10:11], s[18:19]
	v_mul_u32_u24_e32 v111, 0x908, v110
	v_add_nc_u32_e32 v97, 0xbb, v108
	v_add_nc_u32_e32 v96, 0xcc, v108
	;; [unrolled: 1-line block ×6, first 2 shown]
	s_or_b32 s10, s10, vcc_lo
	s_and_saveexec_b32 s11, s10
	s_cbranch_execz .LBB0_14
; %bb.13:
	v_mad_u64_u32 v[1:2], null, s2, v110, 0
	v_mad_u64_u32 v[3:4], null, s0, v108, 0
	;; [unrolled: 1-line block ×4, first 2 shown]
	s_lshl_b64 s[12:13], s[6:7], 3
	v_mad_u64_u32 v[17:18], null, s0, v101, 0
	v_mad_u64_u32 v[9:10], null, s3, v110, v[2:3]
	;; [unrolled: 1-line block ×4, first 2 shown]
	s_add_u32 s12, s4, s12
	s_addc_u32 s13, s5, s13
	v_mov_b32_e32 v2, v9
	v_mad_u64_u32 v[21:22], null, s0, v100, 0
	v_mov_b32_e32 v9, v11
	v_mov_b32_e32 v4, v12
	v_lshlrev_b64 v[1:2], 3, v[1:2]
	v_mad_u64_u32 v[11:12], null, s1, v107, v[6:7]
	v_mad_u64_u32 v[12:13], null, s1, v106, v[8:9]
	v_lshlrev_b64 v[3:4], 3, v[3:4]
	v_add_co_u32 v40, vcc_lo, s12, v1
	v_add_co_ci_u32_e32 v41, vcc_lo, s13, v2, vcc_lo
	v_mov_b32_e32 v6, v11
	v_add_co_u32 v1, vcc_lo, v40, v3
	v_add_co_ci_u32_e32 v2, vcc_lo, v41, v4, vcc_lo
	v_lshlrev_b64 v[3:4], 3, v[5:6]
	v_mad_u64_u32 v[5:6], null, s1, v105, v[9:10]
	v_mov_b32_e32 v8, v12
	v_mad_u64_u32 v[13:14], null, s0, v104, 0
	v_add_co_u32 v3, vcc_lo, v40, v3
	v_lshlrev_b64 v[6:7], 3, v[7:8]
	v_mov_b32_e32 v11, v5
	v_mad_u64_u32 v[8:9], null, s0, v103, 0
	v_add_co_ci_u32_e32 v4, vcc_lo, v41, v4, vcc_lo
	v_mov_b32_e32 v5, v14
	v_add_co_u32 v6, vcc_lo, v40, v6
	v_lshlrev_b64 v[10:11], 3, v[10:11]
	v_add_co_ci_u32_e32 v7, vcc_lo, v41, v7, vcc_lo
	v_mad_u64_u32 v[14:15], null, s1, v104, v[5:6]
	v_mov_b32_e32 v5, v9
	v_add_co_u32 v9, vcc_lo, v40, v10
	v_add_co_ci_u32_e32 v10, vcc_lo, v41, v11, vcc_lo
	v_mad_u64_u32 v[11:12], null, s1, v103, v[5:6]
	s_clause 0x3
	global_load_dwordx2 v[1:2], v[1:2], off
	global_load_dwordx2 v[3:4], v[3:4], off
	;; [unrolled: 1-line block ×4, first 2 shown]
	v_mad_u64_u32 v[15:16], null, s0, v102, 0
	v_lshlrev_b64 v[12:13], 3, v[13:14]
	v_mad_u64_u32 v[23:24], null, s0, v99, 0
	v_mov_b32_e32 v9, v11
	v_mad_u64_u32 v[28:29], null, s0, v97, 0
	v_mov_b32_e32 v5, v16
	v_mad_u64_u32 v[30:31], null, s0, v96, 0
	v_lshlrev_b64 v[8:9], 3, v[8:9]
	s_waitcnt vmcnt(1)
	v_mad_u64_u32 v[10:11], null, s1, v102, v[5:6]
	v_mov_b32_e32 v5, v18
	v_add_co_u32 v11, vcc_lo, v40, v12
	v_add_co_ci_u32_e32 v12, vcc_lo, v41, v13, vcc_lo
	v_mad_u64_u32 v[13:14], null, s1, v101, v[5:6]
	v_mov_b32_e32 v16, v10
	v_mov_b32_e32 v5, v22
	v_add_co_u32 v8, vcc_lo, v40, v8
	v_add_co_ci_u32_e32 v9, vcc_lo, v41, v9, vcc_lo
	v_lshlrev_b64 v[14:15], 3, v[15:16]
	v_mad_u64_u32 v[25:26], null, s1, v100, v[5:6]
	v_mov_b32_e32 v18, v13
	v_mov_b32_e32 v5, v24
	v_mad_u64_u32 v[26:27], null, s0, v98, 0
	v_add_co_u32 v13, vcc_lo, v40, v14
	v_add_co_ci_u32_e32 v14, vcc_lo, v41, v15, vcc_lo
	v_lshlrev_b64 v[15:16], 3, v[17:18]
	v_mad_u64_u32 v[17:18], null, s1, v99, v[5:6]
	v_mov_b32_e32 v5, v27
	v_mov_b32_e32 v22, v25
	v_add_co_u32 v15, vcc_lo, v40, v15
	v_add_co_ci_u32_e32 v16, vcc_lo, v41, v16, vcc_lo
	v_mov_b32_e32 v24, v17
	v_mad_u64_u32 v[17:18], null, s1, v98, v[5:6]
	v_mov_b32_e32 v5, v29
	v_lshlrev_b64 v[21:22], 3, v[21:22]
	v_lshlrev_b64 v[23:24], 3, v[23:24]
	s_clause 0x3
	global_load_dwordx2 v[10:11], v[11:12], off
	global_load_dwordx2 v[8:9], v[8:9], off
	;; [unrolled: 1-line block ×4, first 2 shown]
	v_mov_b32_e32 v27, v17
	v_mad_u64_u32 v[17:18], null, s1, v97, v[5:6]
	v_mov_b32_e32 v5, v31
	v_add_co_u32 v21, vcc_lo, v40, v21
	v_lshlrev_b64 v[25:26], 3, v[26:27]
	v_add_co_ci_u32_e32 v22, vcc_lo, v41, v22, vcc_lo
	v_mad_u64_u32 v[31:32], null, s1, v96, v[5:6]
	v_add_co_u32 v23, vcc_lo, v40, v23
	v_mad_u64_u32 v[32:33], null, s0, v95, 0
	v_mov_b32_e32 v29, v17
	v_add_co_ci_u32_e32 v24, vcc_lo, v41, v24, vcc_lo
	v_add_co_u32 v17, vcc_lo, v40, v25
	v_add_co_ci_u32_e32 v18, vcc_lo, v41, v26, vcc_lo
	v_lshlrev_b64 v[25:26], 3, v[28:29]
	v_mad_u64_u32 v[27:28], null, s0, v93, 0
	v_mov_b32_e32 v5, v33
	v_lshlrev_b64 v[29:30], 3, v[30:31]
	v_add_co_u32 v25, vcc_lo, v40, v25
	v_mad_u64_u32 v[33:34], null, s1, v95, v[5:6]
	v_mov_b32_e32 v5, v28
	v_mad_u64_u32 v[34:35], null, s0, v94, 0
	v_add_co_ci_u32_e32 v26, vcc_lo, v41, v26, vcc_lo
	v_mad_u64_u32 v[36:37], null, s1, v93, v[5:6]
	v_mad_u64_u32 v[37:38], null, s0, v92, 0
	v_mov_b32_e32 v5, v35
	v_lshlrev_b64 v[31:32], 3, v[32:33]
	v_add_co_u32 v29, vcc_lo, v40, v29
	v_mov_b32_e32 v28, v36
	v_mad_u64_u32 v[35:36], null, s1, v94, v[5:6]
	v_mov_b32_e32 v5, v38
	v_add_co_ci_u32_e32 v30, vcc_lo, v41, v30, vcc_lo
	v_lshlrev_b64 v[27:28], 3, v[27:28]
	v_add_co_u32 v31, vcc_lo, v40, v31
	v_mad_u64_u32 v[38:39], null, s1, v92, v[5:6]
	v_lshlrev_b64 v[33:34], 3, v[34:35]
	v_add_co_ci_u32_e32 v32, vcc_lo, v41, v32, vcc_lo
	v_add_co_u32 v27, vcc_lo, v40, v27
	v_add_co_ci_u32_e32 v28, vcc_lo, v41, v28, vcc_lo
	v_lshlrev_b64 v[35:36], 3, v[37:38]
	v_add_co_u32 v33, vcc_lo, v40, v33
	v_add_co_ci_u32_e32 v34, vcc_lo, v41, v34, vcc_lo
	s_clause 0x3
	global_load_dwordx2 v[21:22], v[21:22], off
	global_load_dwordx2 v[23:24], v[23:24], off
	;; [unrolled: 1-line block ×4, first 2 shown]
	v_add_co_u32 v35, vcc_lo, v40, v35
	v_add_co_ci_u32_e32 v36, vcc_lo, v41, v36, vcc_lo
	s_clause 0x4
	global_load_dwordx2 v[29:30], v[29:30], off
	global_load_dwordx2 v[31:32], v[31:32], off
	;; [unrolled: 1-line block ×5, first 2 shown]
	v_add3_u32 v5, 0, v111, v109
	ds_write2_b64 v5, v[1:2], v[3:4] offset1:17
	s_waitcnt vmcnt(13)
	ds_write2_b64 v5, v[6:7], v[19:20] offset0:34 offset1:51
	s_waitcnt vmcnt(11)
	ds_write2_b64 v5, v[10:11], v[8:9] offset0:68 offset1:85
	;; [unrolled: 2-line block ×7, first 2 shown]
	s_waitcnt vmcnt(0)
	ds_write_b64 v5, v[35:36] offset:2176
.LBB0_14:
	s_or_b32 exec_lo, exec_lo, s11
	s_add_u32 s11, 0, 0x92481000
	s_addc_u32 s12, 0, 0x64
	s_mul_hi_u32 s14, s11, -7
	s_add_i32 s12, s12, 0x249248c0
	v_mov_b32_e32 v1, 0xf10
	s_sub_i32 s14, s14, s11
	s_mul_i32 s18, s12, -7
	s_mul_i32 s13, s11, -7
	s_add_i32 s14, s14, s18
	s_mul_hi_u32 s15, s12, s13
	s_mul_i32 s18, s12, s13
	s_mul_i32 s19, s11, s14
	s_mul_hi_u32 s13, s11, s13
	v_mul_u32_u24_sdwa v1, v0, v1 dst_sel:DWORD dst_unused:UNUSED_PAD src0_sel:WORD_0 src1_sel:DWORD
	s_mul_hi_u32 s20, s11, s14
	s_add_u32 s13, s13, s19
	s_addc_u32 s19, 0, s20
	s_mul_hi_u32 s20, s12, s14
	s_add_u32 s13, s13, s18
	s_addc_u32 s13, s19, s15
	s_mul_i32 s14, s12, s14
	v_lshrrev_b32_e32 v5, 16, v1
	s_addc_u32 s15, s20, 0
	s_add_u32 s13, s13, s14
	s_waitcnt lgkmcnt(0)
	v_add_co_u32 v3, s11, s11, s13
	s_addc_u32 s13, 0, s15
	s_cmp_lg_u32 s11, 0
	v_add_co_u32 v113, s11, s36, v5
	s_addc_u32 s12, s12, s13
	v_add_co_ci_u32_e64 v6, null, s33, 0, s11
	v_mad_u64_u32 v[1:2], null, v113, s12, 0
	v_mul_hi_u32 v7, v113, v3
	v_mad_u64_u32 v[3:4], null, v6, v3, 0
	v_mul_lo_u16 v5, v5, 17
	s_barrier
	buffer_gl0_inv
	v_mov_b32_e32 v116, 3
	v_add_co_u32 v7, vcc_lo, v7, v1
	v_add_co_ci_u32_e32 v8, vcc_lo, 0, v2, vcc_lo
	v_mad_u64_u32 v[1:2], null, v6, s12, 0
	v_add_co_u32 v3, vcc_lo, v7, v3
	v_add_co_ci_u32_e32 v3, vcc_lo, v8, v4, vcc_lo
	v_sub_nc_u16 v0, v0, v5
	v_add_co_ci_u32_e32 v2, vcc_lo, 0, v2, vcc_lo
	v_add_co_u32 v1, vcc_lo, v3, v1
	v_and_b32_e32 v114, 0xffff, v0
	v_add_co_ci_u32_e32 v3, vcc_lo, 0, v2, vcc_lo
	v_mad_u64_u32 v[1:2], null, v1, 7, 0
	v_mad_u64_u32 v[2:3], null, v3, 7, v[2:3]
	v_sub_co_u32 v1, vcc_lo, v113, v1
	v_sub_co_ci_u32_e32 v2, vcc_lo, v6, v2, vcc_lo
	v_sub_co_u32 v3, vcc_lo, v1, 7
	v_subrev_co_ci_u32_e32 v4, vcc_lo, 0, v2, vcc_lo
	v_cmp_lt_u32_e32 vcc_lo, 6, v3
	v_cndmask_b32_e64 v6, 0, -1, vcc_lo
	v_cmp_lt_u32_e32 vcc_lo, 6, v1
	v_cndmask_b32_e64 v7, 0, -1, vcc_lo
	v_cmp_eq_u32_e32 vcc_lo, 0, v4
	v_cndmask_b32_e32 v4, -1, v6, vcc_lo
	v_cmp_eq_u32_e32 vcc_lo, 0, v2
	v_add_nc_u32_e32 v6, -7, v3
	v_cndmask_b32_e32 v2, -1, v7, vcc_lo
	v_cmp_ne_u32_e32 vcc_lo, 0, v4
	v_cndmask_b32_e32 v3, v3, v6, vcc_lo
	v_cmp_ne_u32_e32 vcc_lo, 0, v2
	v_cndmask_b32_e32 v1, v1, v3, vcc_lo
	v_mul_u32_u24_e32 v0, 0x121, v1
	v_lshlrev_b32_e32 v1, 3, v114
	v_lshlrev_b32_e32 v0, 3, v0
	v_add_nc_u32_e32 v34, 0, v0
	v_add3_u32 v112, 0, v1, v0
	ds_read2_b64 v[20:23], v112 offset0:51 offset1:68
	ds_read2_b64 v[8:11], v112 offset0:221 offset1:238
	v_add_nc_u32_e32 v115, v34, v1
	v_add_nc_u32_e32 v4, 0x400, v112
	ds_read2_b64 v[24:27], v112 offset0:85 offset1:102
	ds_read2_b64 v[16:19], v112 offset0:187 offset1:204
	;; [unrolled: 1-line block ×3, first 2 shown]
	ds_read_b64 v[32:33], v115
	ds_read2_b64 v[0:3], v112 offset0:119 offset1:136
	ds_read2_b64 v[12:15], v4 offset0:127 offset1:144
	ds_read2_b64 v[4:7], v112 offset0:153 offset1:170
	v_mad_u32_u24 v34, 0x88, v114, v34
	s_waitcnt lgkmcnt(0)
	s_barrier
	buffer_gl0_inv
	v_add_f32_e32 v48, v10, v20
	v_add_f32_e32 v47, v11, v21
	;; [unrolled: 1-line block ×6, first 2 shown]
	v_sub_f32_e32 v57, v30, v12
	v_sub_f32_e32 v58, v31, v13
	v_add_f32_e32 v30, v51, v30
	v_add_f32_e32 v31, v52, v31
	v_sub_f32_e32 v49, v20, v10
	v_sub_f32_e32 v50, v21, v11
	v_add_f32_e32 v36, v16, v26
	v_add_f32_e32 v20, v30, v20
	;; [unrolled: 1-line block ×4, first 2 shown]
	v_sub_f32_e32 v37, v26, v16
	v_sub_f32_e32 v38, v27, v17
	v_add_f32_e32 v20, v20, v22
	v_add_f32_e32 v21, v21, v23
	;; [unrolled: 1-line block ×4, first 2 shown]
	v_sub_f32_e32 v28, v28, v14
	v_add_f32_e32 v20, v20, v24
	v_add_f32_e32 v21, v21, v25
	v_sub_f32_e32 v29, v29, v15
	v_add_f32_e32 v39, v8, v22
	v_add_f32_e32 v40, v9, v23
	;; [unrolled: 1-line block ×4, first 2 shown]
	v_sub_f32_e32 v43, v22, v8
	v_sub_f32_e32 v45, v23, v9
	v_mul_f32_e32 v51, 0xbeb8f4ab, v29
	v_add_f32_e32 v20, v20, v0
	v_add_f32_e32 v21, v21, v1
	v_mul_f32_e32 v52, 0xbeb8f4ab, v28
	v_mul_f32_e32 v63, 0xbf7ee86f, v29
	;; [unrolled: 1-line block ×3, first 2 shown]
	v_add_f32_e32 v20, v20, v2
	v_add_f32_e32 v21, v21, v3
	;; [unrolled: 1-line block ×3, first 2 shown]
	v_sub_f32_e32 v44, v24, v18
	v_mul_f32_e32 v59, 0xbf2c7751, v29
	v_add_f32_e32 v20, v20, v4
	v_add_f32_e32 v21, v21, v5
	v_mul_f32_e32 v60, 0xbf2c7751, v28
	v_mul_f32_e32 v61, 0xbf65296c, v29
	v_mul_f32_e32 v62, 0xbf65296c, v28
	v_add_f32_e32 v20, v20, v6
	v_add_f32_e32 v21, v21, v7
	v_mul_f32_e32 v64, 0xbf7ee86f, v28
	v_mul_f32_e32 v66, 0xbf4c4adb, v29
	;; [unrolled: 5-line block ×4, first 2 shown]
	v_fma_f32 v30, 0x3f6eb680, v53, -v51
	v_add_f32_e32 v8, v16, v8
	v_add_f32_e32 v9, v17, v9
	v_fmac_f32_e32 v51, 0x3f6eb680, v53
	v_fma_f32 v72, 0x3dbcf732, v53, -v63
	v_fmac_f32_e32 v63, 0x3dbcf732, v53
	v_fma_f32 v73, 0xbe8c1d8e, v53, -v65
	v_fmac_f32_e32 v65, 0xbe8c1d8e, v53
	v_fmamk_f32 v24, v54, 0x3f6eb680, v52
	v_add_f32_e32 v8, v8, v10
	v_add_f32_e32 v9, v9, v11
	;; [unrolled: 1-line block ×3, first 2 shown]
	v_sub_f32_e32 v46, v25, v19
	v_fma_f32 v31, 0x3f3d2fb0, v53, -v59
	v_fmac_f32_e32 v59, 0x3f3d2fb0, v53
	v_fma_f32 v71, 0x3ee437d1, v53, -v61
	v_fmac_f32_e32 v61, 0x3ee437d1, v53
	;; [unrolled: 2-line block ×5, first 2 shown]
	v_fma_f32 v25, 0x3f6eb680, v54, -v52
	v_fmamk_f32 v26, v54, 0x3f3d2fb0, v60
	v_fma_f32 v27, 0x3f3d2fb0, v54, -v60
	v_fmamk_f32 v52, v54, 0x3ee437d1, v62
	;; [unrolled: 2-line block ×7, first 2 shown]
	v_fma_f32 v28, 0xbf7ba420, v54, -v28
	v_add_f32_e32 v20, v32, v30
	v_add_f32_e32 v21, v33, v24
	;; [unrolled: 1-line block ×7, first 2 shown]
	v_mul_f32_e32 v63, 0xbf2c7751, v58
	v_mul_f32_e32 v65, 0xbf2c7751, v57
	v_add_f32_e32 v18, v33, v25
	v_add_f32_e32 v19, v32, v31
	;; [unrolled: 1-line block ×27, first 2 shown]
	v_fma_f32 v67, 0x3f3d2fb0, v55, -v63
	v_add_f32_e32 v29, v32, v29
	v_add_f32_e32 v28, v33, v28
	v_fmamk_f32 v32, v56, 0x3f3d2fb0, v65
	v_mul_f32_e32 v33, 0xbf7ee86f, v58
	v_add_f32_e32 v20, v67, v20
	v_fmac_f32_e32 v63, 0x3f3d2fb0, v55
	v_mul_f32_e32 v67, 0xbf7ee86f, v57
	v_add_f32_e32 v21, v32, v21
	v_fma_f32 v32, 0x3dbcf732, v55, -v33
	v_fma_f32 v65, 0x3f3d2fb0, v56, -v65
	v_add_f32_e32 v24, v63, v24
	v_mul_f32_e32 v63, 0xbf4c4adb, v58
	v_fmac_f32_e32 v33, 0x3dbcf732, v55
	v_add_f32_e32 v19, v32, v19
	v_fmamk_f32 v32, v56, 0x3dbcf732, v67
	v_mul_f32_e32 v68, 0xbf4c4adb, v57
	v_add_f32_e32 v18, v65, v18
	v_fma_f32 v65, 0x3dbcf732, v56, -v67
	v_fma_f32 v67, 0xbf1a4643, v55, -v63
	v_add_f32_e32 v25, v32, v25
	v_add_f32_e32 v16, v33, v16
	v_fmamk_f32 v32, v56, 0xbf1a4643, v68
	v_mul_f32_e32 v33, 0xbe3c28d5, v58
	v_add_f32_e32 v17, v65, v17
	v_add_f32_e32 v26, v67, v26
	v_fmac_f32_e32 v63, 0xbf1a4643, v55
	v_fma_f32 v65, 0xbf1a4643, v56, -v68
	v_mul_f32_e32 v67, 0xbe3c28d5, v57
	v_add_f32_e32 v10, v32, v10
	v_fma_f32 v32, 0xbf7ba420, v55, -v33
	v_add_f32_e32 v11, v63, v11
	v_add_f32_e32 v27, v65, v27
	v_fmamk_f32 v63, v56, 0xbf7ba420, v67
	v_mul_f32_e32 v65, 0x3f06c442, v58
	v_add_f32_e32 v12, v32, v12
	v_fma_f32 v32, 0xbf7ba420, v56, -v67
	v_fmac_f32_e32 v33, 0xbf7ba420, v55
	v_add_f32_e32 v13, v63, v13
	v_fma_f32 v63, 0xbf59a7d5, v55, -v65
	v_mul_f32_e32 v67, 0x3f06c442, v57
	v_add_f32_e32 v14, v32, v14
	v_mul_f32_e32 v32, 0x3f763a35, v58
	v_add_f32_e32 v30, v33, v30
	v_add_f32_e32 v15, v63, v15
	v_fmamk_f32 v33, v56, 0xbf59a7d5, v67
	v_fmac_f32_e32 v65, 0xbf59a7d5, v55
	v_fma_f32 v63, 0xbf59a7d5, v56, -v67
	v_fma_f32 v67, 0xbe8c1d8e, v55, -v32
	v_mul_f32_e32 v68, 0x3f763a35, v57
	v_add_f32_e32 v31, v33, v31
	v_add_f32_e32 v33, v65, v51
	;; [unrolled: 1-line block ×4, first 2 shown]
	v_fmamk_f32 v53, v56, 0xbe8c1d8e, v68
	v_fmac_f32_e32 v32, 0xbe8c1d8e, v55
	v_mul_f32_e32 v63, 0x3f65296c, v58
	v_mul_f32_e32 v65, 0x3f65296c, v57
	;; [unrolled: 1-line block ×3, first 2 shown]
	v_add_f32_e32 v53, v53, v54
	v_add_f32_e32 v32, v32, v59
	v_fma_f32 v54, 0x3ee437d1, v55, -v63
	v_fmamk_f32 v59, v56, 0x3ee437d1, v65
	v_fmac_f32_e32 v63, 0x3ee437d1, v55
	v_mul_f32_e32 v57, 0x3eb8f4ab, v57
	v_fma_f32 v67, 0xbe8c1d8e, v56, -v68
	v_add_f32_e32 v22, v54, v22
	v_add_f32_e32 v54, v59, v61
	v_fma_f32 v61, 0x3f6eb680, v55, -v58
	v_add_f32_e32 v59, v63, v62
	v_fma_f32 v62, 0x3ee437d1, v56, -v65
	v_fmac_f32_e32 v58, 0x3f6eb680, v55
	v_fmamk_f32 v55, v56, 0x3f6eb680, v57
	v_fma_f32 v56, 0x3f6eb680, v56, -v57
	v_mul_f32_e32 v57, 0xbf65296c, v50
	v_add_f32_e32 v23, v61, v23
	v_mul_f32_e32 v61, 0xbf65296c, v49
	v_add_f32_e32 v29, v58, v29
	v_add_f32_e32 v28, v56, v28
	v_fma_f32 v63, 0x3ee437d1, v48, -v57
	v_mul_f32_e32 v58, 0xbf4c4adb, v50
	v_fmamk_f32 v56, v47, 0x3ee437d1, v61
	v_fmac_f32_e32 v57, 0x3ee437d1, v48
	v_fma_f32 v61, 0x3ee437d1, v47, -v61
	v_add_f32_e32 v20, v63, v20
	v_mul_f32_e32 v63, 0xbf4c4adb, v49
	v_add_f32_e32 v21, v56, v21
	v_fma_f32 v56, 0xbf1a4643, v48, -v58
	v_add_f32_e32 v24, v57, v24
	v_mul_f32_e32 v57, 0x3e3c28d5, v50
	v_add_f32_e32 v62, v62, v64
	v_add_f32_e32 v18, v61, v18
	v_add_f32_e32 v19, v56, v19
	v_fmamk_f32 v56, v47, 0xbf1a4643, v63
	v_fmac_f32_e32 v58, 0xbf1a4643, v48
	v_fma_f32 v61, 0xbf1a4643, v47, -v63
	v_fma_f32 v63, 0xbf7ba420, v48, -v57
	v_mul_f32_e32 v64, 0x3e3c28d5, v49
	v_add_f32_e32 v25, v56, v25
	v_add_f32_e32 v16, v58, v16
	;; [unrolled: 1-line block ×4, first 2 shown]
	v_fmamk_f32 v56, v47, 0xbf7ba420, v64
	v_mul_f32_e32 v58, 0x3f763a35, v50
	v_fmac_f32_e32 v57, 0xbf7ba420, v48
	v_fma_f32 v61, 0xbf7ba420, v47, -v64
	v_mul_f32_e32 v63, 0x3f763a35, v49
	v_add_f32_e32 v10, v56, v10
	v_fma_f32 v56, 0xbe8c1d8e, v48, -v58
	v_add_f32_e32 v11, v57, v11
	v_add_f32_e32 v27, v61, v27
	v_fmamk_f32 v57, v47, 0xbe8c1d8e, v63
	v_mul_f32_e32 v61, 0x3f2c7751, v50
	v_add_f32_e32 v12, v56, v12
	v_fmac_f32_e32 v58, 0xbe8c1d8e, v48
	v_fma_f32 v56, 0xbe8c1d8e, v47, -v63
	v_add_f32_e32 v13, v57, v13
	v_fma_f32 v57, 0x3f3d2fb0, v48, -v61
	v_mul_f32_e32 v63, 0x3f2c7751, v49
	v_add_f32_e32 v30, v58, v30
	v_add_f32_e32 v14, v56, v14
	v_mul_f32_e32 v56, 0xbeb8f4ab, v50
	v_add_f32_e32 v15, v57, v15
	v_fmamk_f32 v57, v47, 0x3f3d2fb0, v63
	v_fmac_f32_e32 v61, 0x3f3d2fb0, v48
	v_fma_f32 v58, 0x3f3d2fb0, v47, -v63
	v_mul_f32_e32 v64, 0xbeb8f4ab, v49
	v_fma_f32 v63, 0x3f6eb680, v48, -v56
	v_add_f32_e32 v31, v57, v31
	v_add_f32_e32 v33, v61, v33
	;; [unrolled: 1-line block ×3, first 2 shown]
	v_fmamk_f32 v57, v47, 0x3f6eb680, v64
	v_fmac_f32_e32 v56, 0x3f6eb680, v48
	v_mul_f32_e32 v58, 0xbf7ee86f, v50
	v_mul_f32_e32 v61, 0xbf7ee86f, v49
	;; [unrolled: 1-line block ×3, first 2 shown]
	v_add_f32_e32 v53, v57, v53
	v_add_f32_e32 v32, v56, v32
	v_fma_f32 v56, 0x3dbcf732, v48, -v58
	v_fmamk_f32 v57, v47, 0x3dbcf732, v61
	v_fmac_f32_e32 v58, 0x3dbcf732, v48
	v_mul_f32_e32 v49, 0xbf06c442, v49
	v_add_f32_e32 v55, v55, v66
	v_add_f32_e32 v52, v63, v52
	v_fma_f32 v63, 0x3f6eb680, v47, -v64
	v_add_f32_e32 v22, v56, v22
	v_add_f32_e32 v54, v57, v54
	;; [unrolled: 1-line block ×3, first 2 shown]
	v_fma_f32 v57, 0xbf59a7d5, v48, -v50
	v_fma_f32 v58, 0x3dbcf732, v47, -v61
	v_fmac_f32_e32 v50, 0xbf59a7d5, v48
	v_fmamk_f32 v48, v47, 0xbf59a7d5, v49
	v_fma_f32 v47, 0xbf59a7d5, v47, -v49
	v_mul_f32_e32 v49, 0xbf7ee86f, v45
	v_add_f32_e32 v23, v57, v23
	v_add_f32_e32 v29, v50, v29
	;; [unrolled: 1-line block ×3, first 2 shown]
	v_mul_f32_e32 v55, 0xbf7ee86f, v43
	v_fma_f32 v57, 0x3dbcf732, v39, -v49
	v_add_f32_e32 v28, v47, v28
	v_mul_f32_e32 v47, 0xbe3c28d5, v45
	v_fmac_f32_e32 v49, 0x3dbcf732, v39
	v_fmamk_f32 v50, v40, 0x3dbcf732, v55
	v_add_f32_e32 v20, v57, v20
	v_fma_f32 v55, 0x3dbcf732, v40, -v55
	v_fma_f32 v57, 0xbf7ba420, v39, -v47
	v_fmac_f32_e32 v47, 0xbf7ba420, v39
	v_add_f32_e32 v21, v50, v21
	v_mul_f32_e32 v50, 0xbe3c28d5, v43
	v_add_f32_e32 v24, v49, v24
	v_add_f32_e32 v19, v57, v19
	v_mul_f32_e32 v57, 0x3f763a35, v43
	v_add_f32_e32 v18, v55, v18
	v_mul_f32_e32 v49, 0x3f763a35, v45
	v_fmamk_f32 v55, v40, 0xbf7ba420, v50
	v_fma_f32 v50, 0xbf7ba420, v40, -v50
	v_add_f32_e32 v16, v47, v16
	v_fmamk_f32 v47, v40, 0xbe8c1d8e, v57
	v_fma_f32 v59, 0xbe8c1d8e, v39, -v49
	v_add_f32_e32 v25, v55, v25
	v_add_f32_e32 v17, v50, v17
	v_mul_f32_e32 v50, 0x3eb8f4ab, v45
	v_fmac_f32_e32 v49, 0xbe8c1d8e, v39
	v_fma_f32 v55, 0xbe8c1d8e, v40, -v57
	v_add_f32_e32 v10, v47, v10
	v_mul_f32_e32 v47, 0x3eb8f4ab, v43
	v_fma_f32 v57, 0x3f6eb680, v39, -v50
	v_add_f32_e32 v11, v49, v11
	v_add_f32_e32 v27, v55, v27
	v_mul_f32_e32 v49, 0xbf65296c, v45
	v_fmamk_f32 v55, v40, 0x3f6eb680, v47
	v_add_f32_e32 v12, v57, v12
	v_fmac_f32_e32 v50, 0x3f6eb680, v39
	v_fma_f32 v47, 0x3f6eb680, v40, -v47
	v_fma_f32 v57, 0x3ee437d1, v39, -v49
	v_add_f32_e32 v13, v55, v13
	v_mul_f32_e32 v55, 0xbf65296c, v43
	v_add_f32_e32 v30, v50, v30
	v_add_f32_e32 v60, v67, v60
	;; [unrolled: 1-line block ×3, first 2 shown]
	v_mul_f32_e32 v57, 0xbf06c442, v43
	v_fmamk_f32 v50, v40, 0x3ee437d1, v55
	v_add_f32_e32 v14, v47, v14
	v_mul_f32_e32 v47, 0xbf06c442, v45
	v_fmac_f32_e32 v49, 0x3ee437d1, v39
	v_fma_f32 v55, 0x3ee437d1, v40, -v55
	v_add_f32_e32 v31, v50, v31
	v_fmamk_f32 v50, v40, 0xbf59a7d5, v57
	v_add_f32_e32 v60, v63, v60
	v_add_f32_e32 v26, v59, v26
	v_fma_f32 v59, 0xbf59a7d5, v39, -v47
	v_add_f32_e32 v33, v49, v33
	v_add_f32_e32 v49, v55, v51
	v_fmac_f32_e32 v47, 0xbf59a7d5, v39
	v_fma_f32 v55, 0xbf59a7d5, v40, -v57
	v_add_f32_e32 v50, v50, v53
	v_mul_f32_e32 v53, 0x3f4c4adb, v43
	v_add_f32_e32 v51, v59, v52
	v_mul_f32_e32 v52, 0x3f4c4adb, v45
	v_add_f32_e32 v32, v47, v32
	v_add_f32_e32 v47, v55, v60
	v_fmamk_f32 v55, v40, 0xbf1a4643, v53
	v_mul_f32_e32 v45, 0x3f2c7751, v45
	v_fma_f32 v57, 0xbf1a4643, v39, -v52
	v_fmac_f32_e32 v52, 0xbf1a4643, v39
	v_mul_f32_e32 v43, 0x3f2c7751, v43
	v_add_f32_e32 v54, v55, v54
	v_mul_f32_e32 v55, 0xbf763a35, v46
	v_add_f32_e32 v22, v57, v22
	v_fma_f32 v53, 0xbf1a4643, v40, -v53
	v_fma_f32 v57, 0x3f3d2fb0, v39, -v45
	v_add_f32_e32 v52, v52, v56
	v_fmamk_f32 v56, v40, 0x3f3d2fb0, v43
	v_fmac_f32_e32 v45, 0x3f3d2fb0, v39
	v_fma_f32 v39, 0x3f3d2fb0, v40, -v43
	v_mul_f32_e32 v40, 0xbf763a35, v44
	v_fma_f32 v43, 0xbe8c1d8e, v41, -v55
	v_fmac_f32_e32 v55, 0xbe8c1d8e, v41
	v_add_f32_e32 v29, v45, v29
	v_add_f32_e32 v28, v39, v28
	v_fmamk_f32 v39, v42, 0xbe8c1d8e, v40
	v_add_f32_e32 v20, v43, v20
	v_mul_f32_e32 v43, 0x3f06c442, v46
	v_mul_f32_e32 v45, 0x3f06c442, v44
	v_fma_f32 v40, 0xbe8c1d8e, v42, -v40
	v_add_f32_e32 v21, v39, v21
	v_add_f32_e32 v24, v55, v24
	v_fma_f32 v39, 0xbf59a7d5, v41, -v43
	v_fmamk_f32 v55, v42, 0xbf59a7d5, v45
	v_fmac_f32_e32 v43, 0xbf59a7d5, v41
	v_add_f32_e32 v18, v40, v18
	v_mul_f32_e32 v40, 0x3f2c7751, v46
	v_add_f32_e32 v19, v39, v19
	v_fma_f32 v39, 0xbf59a7d5, v42, -v45
	v_mul_f32_e32 v45, 0x3f2c7751, v44
	v_add_f32_e32 v16, v43, v16
	v_mul_f32_e32 v43, 0xbf65296c, v46
	v_add_f32_e32 v48, v56, v48
	v_add_f32_e32 v17, v39, v17
	v_fmamk_f32 v39, v42, 0x3f3d2fb0, v45
	v_fma_f32 v56, 0x3f3d2fb0, v41, -v40
	v_add_f32_e32 v25, v55, v25
	v_fmac_f32_e32 v40, 0x3f3d2fb0, v41
	v_mul_f32_e32 v55, 0xbf65296c, v44
	v_add_f32_e32 v10, v39, v10
	v_fma_f32 v39, 0x3ee437d1, v41, -v43
	v_fma_f32 v45, 0x3f3d2fb0, v42, -v45
	v_add_f32_e32 v11, v40, v11
	v_fmamk_f32 v40, v42, 0x3ee437d1, v55
	v_fmac_f32_e32 v43, 0x3ee437d1, v41
	v_add_f32_e32 v12, v39, v12
	v_fma_f32 v39, 0x3ee437d1, v42, -v55
	v_mul_f32_e32 v55, 0xbe3c28d5, v44
	v_add_f32_e32 v27, v45, v27
	v_mul_f32_e32 v45, 0xbe3c28d5, v46
	v_add_f32_e32 v13, v40, v13
	v_add_f32_e32 v14, v39, v14
	v_fmamk_f32 v39, v42, 0xbf7ba420, v55
	v_add_f32_e32 v30, v43, v30
	v_mul_f32_e32 v40, 0x3f7ee86f, v46
	v_fma_f32 v43, 0xbf7ba420, v42, -v55
	v_add_f32_e32 v26, v56, v26
	v_add_f32_e32 v31, v39, v31
	v_mul_f32_e32 v39, 0x3f7ee86f, v44
	v_fma_f32 v56, 0xbf7ba420, v41, -v45
	v_fmac_f32_e32 v45, 0xbf7ba420, v41
	v_fma_f32 v55, 0x3dbcf732, v41, -v40
	v_add_f32_e32 v43, v43, v49
	v_fmamk_f32 v49, v42, 0x3dbcf732, v39
	v_fmac_f32_e32 v40, 0x3dbcf732, v41
	v_add_f32_e32 v33, v45, v33
	v_mul_f32_e32 v45, 0xbeb8f4ab, v46
	v_fma_f32 v39, 0x3dbcf732, v42, -v39
	v_add_f32_e32 v49, v49, v50
	v_mul_f32_e32 v50, 0xbeb8f4ab, v44
	v_add_f32_e32 v32, v40, v32
	v_mul_f32_e32 v40, 0xbf4c4adb, v46
	v_add_f32_e32 v23, v57, v23
	v_add_f32_e32 v51, v55, v51
	v_fma_f32 v55, 0x3f6eb680, v41, -v45
	v_add_f32_e32 v39, v39, v47
	v_fmamk_f32 v46, v42, 0x3f6eb680, v50
	v_fmac_f32_e32 v45, 0x3f6eb680, v41
	v_fma_f32 v47, 0x3f6eb680, v42, -v50
	v_mul_f32_e32 v44, 0xbf4c4adb, v44
	v_fma_f32 v50, 0xbf1a4643, v41, -v40
	v_fmac_f32_e32 v40, 0xbf1a4643, v41
	v_add_f32_e32 v45, v45, v52
	v_add_f32_e32 v15, v56, v15
	v_fmamk_f32 v52, v42, 0xbf1a4643, v44
	v_add_f32_e32 v23, v50, v23
	v_mul_f32_e32 v50, 0xbf4c4adb, v38
	v_fma_f32 v41, 0xbf1a4643, v42, -v44
	v_mul_f32_e32 v44, 0xbf4c4adb, v37
	v_add_f32_e32 v42, v52, v48
	v_add_f32_e32 v29, v40, v29
	v_fma_f32 v48, 0xbf1a4643, v36, -v50
	v_add_f32_e32 v28, v41, v28
	v_mul_f32_e32 v40, 0x3f763a35, v38
	v_fmamk_f32 v41, v35, 0xbf1a4643, v44
	v_fmac_f32_e32 v50, 0xbf1a4643, v36
	v_add_f32_e32 v20, v48, v20
	v_fma_f32 v44, 0xbf1a4643, v35, -v44
	v_fma_f32 v48, 0xbe8c1d8e, v36, -v40
	v_add_f32_e32 v21, v41, v21
	v_mul_f32_e32 v41, 0x3f763a35, v37
	v_add_f32_e32 v24, v50, v24
	v_fmac_f32_e32 v40, 0xbe8c1d8e, v36
	v_mul_f32_e32 v50, 0xbeb8f4ab, v37
	v_add_f32_e32 v18, v44, v18
	v_add_f32_e32 v19, v48, v19
	v_mul_f32_e32 v44, 0xbeb8f4ab, v38
	v_fmamk_f32 v48, v35, 0xbe8c1d8e, v41
	v_fma_f32 v41, 0xbe8c1d8e, v35, -v41
	v_add_f32_e32 v16, v40, v16
	v_fmamk_f32 v40, v35, 0x3f6eb680, v50
	v_fma_f32 v52, 0x3f6eb680, v36, -v44
	v_add_f32_e32 v25, v48, v25
	v_add_f32_e32 v17, v41, v17
	v_mul_f32_e32 v41, 0xbf06c442, v38
	v_fmac_f32_e32 v44, 0x3f6eb680, v36
	v_fma_f32 v48, 0x3f6eb680, v35, -v50
	v_add_f32_e32 v10, v40, v10
	v_mul_f32_e32 v40, 0xbf06c442, v37
	v_fma_f32 v50, 0xbf59a7d5, v36, -v41
	v_add_f32_e32 v11, v44, v11
	v_add_f32_e32 v27, v48, v27
	v_mul_f32_e32 v44, 0x3f7ee86f, v38
	v_fmamk_f32 v48, v35, 0xbf59a7d5, v40
	v_add_f32_e32 v12, v50, v12
	v_fmac_f32_e32 v41, 0xbf59a7d5, v36
	v_fma_f32 v40, 0xbf59a7d5, v35, -v40
	v_fma_f32 v50, 0x3dbcf732, v36, -v44
	v_add_f32_e32 v13, v48, v13
	v_mul_f32_e32 v48, 0x3f7ee86f, v37
	v_add_f32_e32 v30, v41, v30
	v_add_f32_e32 v58, v58, v62
	;; [unrolled: 1-line block ×3, first 2 shown]
	v_mul_f32_e32 v50, 0xbf2c7751, v37
	v_fmamk_f32 v41, v35, 0x3dbcf732, v48
	v_fma_f32 v48, 0x3dbcf732, v35, -v48
	v_add_f32_e32 v14, v40, v14
	v_mul_f32_e32 v40, 0xbf2c7751, v38
	v_add_f32_e32 v53, v53, v58
	v_add_f32_e32 v31, v41, v31
	;; [unrolled: 1-line block ×3, first 2 shown]
	v_fmamk_f32 v43, v35, 0x3f3d2fb0, v50
	v_add_f32_e32 v26, v52, v26
	v_fma_f32 v52, 0x3f3d2fb0, v36, -v40
	v_fmac_f32_e32 v40, 0x3f3d2fb0, v36
	v_add_f32_e32 v46, v46, v54
	v_add_f32_e32 v43, v43, v49
	v_mul_f32_e32 v49, 0xbe3c28d5, v37
	v_add_f32_e32 v47, v47, v53
	v_fmac_f32_e32 v44, 0x3dbcf732, v36
	v_mul_f32_e32 v48, 0xbe3c28d5, v38
	v_fma_f32 v50, 0x3f3d2fb0, v35, -v50
	v_add_f32_e32 v32, v40, v32
	v_mul_f32_e32 v38, 0x3f65296c, v38
	v_fmamk_f32 v40, v35, 0xbf7ba420, v49
	v_fma_f32 v49, 0xbf7ba420, v35, -v49
	v_add_f32_e32 v33, v44, v33
	v_add_f32_e32 v44, v52, v51
	v_fma_f32 v51, 0xbf7ba420, v36, -v48
	v_add_f32_e32 v39, v50, v39
	v_fmac_f32_e32 v48, 0xbf7ba420, v36
	v_fma_f32 v50, 0x3ee437d1, v36, -v38
	v_add_f32_e32 v40, v40, v46
	v_mul_f32_e32 v37, 0x3f65296c, v37
	v_add_f32_e32 v46, v49, v47
	v_sub_f32_e32 v47, v1, v7
	v_fmac_f32_e32 v38, 0x3ee437d1, v36
	v_sub_f32_e32 v36, v0, v6
	v_add_f32_e32 v45, v48, v45
	v_fmamk_f32 v48, v35, 0x3ee437d1, v37
	v_add_f32_e32 v0, v6, v0
	v_mul_f32_e32 v6, 0xbf06c442, v47
	v_fma_f32 v35, 0x3ee437d1, v35, -v37
	v_add_f32_e32 v1, v7, v1
	v_mul_f32_e32 v7, 0xbf06c442, v36
	v_add_f32_e32 v37, v48, v42
	v_fma_f32 v42, 0xbf59a7d5, v0, -v6
	v_add_f32_e32 v29, v38, v29
	v_add_f32_e32 v28, v35, v28
	v_fmamk_f32 v35, v1, 0xbf59a7d5, v7
	v_mul_f32_e32 v38, 0x3f65296c, v47
	v_fma_f32 v7, 0xbf59a7d5, v1, -v7
	v_add_f32_e32 v20, v42, v20
	v_fmac_f32_e32 v6, 0xbf59a7d5, v0
	v_add_f32_e32 v21, v35, v21
	v_fma_f32 v35, 0x3ee437d1, v0, -v38
	v_mul_f32_e32 v42, 0x3f65296c, v36
	v_add_f32_e32 v7, v7, v18
	v_mul_f32_e32 v18, 0xbf7ee86f, v47
	v_add_f32_e32 v6, v6, v24
	v_add_f32_e32 v19, v35, v19
	v_fmamk_f32 v24, v1, 0x3ee437d1, v42
	v_fmac_f32_e32 v38, 0x3ee437d1, v0
	v_fma_f32 v35, 0x3ee437d1, v1, -v42
	v_fma_f32 v42, 0x3dbcf732, v0, -v18
	v_mul_f32_e32 v48, 0xbf7ee86f, v36
	v_add_f32_e32 v24, v24, v25
	v_add_f32_e32 v16, v38, v16
	;; [unrolled: 1-line block ×4, first 2 shown]
	v_fmamk_f32 v26, v1, 0x3dbcf732, v48
	v_mul_f32_e32 v35, 0x3f4c4adb, v47
	v_fmac_f32_e32 v18, 0x3dbcf732, v0
	v_fma_f32 v38, 0x3dbcf732, v1, -v48
	v_mul_f32_e32 v42, 0x3f4c4adb, v36
	v_add_f32_e32 v26, v26, v10
	v_fma_f32 v10, 0xbf1a4643, v0, -v35
	v_add_f32_e32 v18, v18, v11
	v_add_f32_e32 v27, v38, v27
	v_fmamk_f32 v11, v1, 0xbf1a4643, v42
	v_mul_f32_e32 v38, 0xbeb8f4ab, v47
	v_add_f32_e32 v48, v10, v12
	v_fmac_f32_e32 v35, 0xbf1a4643, v0
	v_fma_f32 v10, 0xbf1a4643, v1, -v42
	v_add_f32_e32 v42, v11, v13
	v_fma_f32 v11, 0x3f6eb680, v0, -v38
	v_mul_f32_e32 v12, 0xbeb8f4ab, v36
	v_add_f32_e32 v30, v35, v30
	v_add_f32_e32 v35, v10, v14
	v_mul_f32_e32 v10, 0xbe3c28d5, v47
	v_add_f32_e32 v49, v11, v15
	v_fmamk_f32 v11, v1, 0x3f6eb680, v12
	v_fmac_f32_e32 v38, 0x3f6eb680, v0
	v_fma_f32 v12, 0x3f6eb680, v1, -v12
	v_mul_f32_e32 v14, 0xbe3c28d5, v36
	v_add_f32_e32 v22, v55, v22
	v_fma_f32 v13, 0xbf7ba420, v0, -v10
	v_add_f32_e32 v31, v11, v31
	v_add_f32_e32 v33, v38, v33
	;; [unrolled: 1-line block ×3, first 2 shown]
	v_fmamk_f32 v11, v1, 0xbf7ba420, v14
	v_mul_f32_e32 v12, 0x3f2c7751, v47
	v_add_f32_e32 v22, v51, v22
	v_add_f32_e32 v41, v13, v44
	v_fmac_f32_e32 v10, 0xbf7ba420, v0
	v_fma_f32 v13, 0xbf7ba420, v1, -v14
	v_mul_f32_e32 v14, 0x3f2c7751, v36
	v_add_f32_e32 v43, v11, v43
	v_fma_f32 v11, 0x3f3d2fb0, v0, -v12
	v_add_f32_e32 v32, v10, v32
	v_add_f32_e32 v39, v13, v39
	v_fmamk_f32 v10, v1, 0x3f3d2fb0, v14
	v_mul_f32_e32 v13, 0xbf763a35, v47
	v_add_f32_e32 v44, v11, v22
	v_fmac_f32_e32 v12, 0x3f3d2fb0, v0
	v_fma_f32 v11, 0x3f3d2fb0, v1, -v14
	v_add_f32_e32 v23, v50, v23
	v_add_f32_e32 v40, v10, v40
	v_fma_f32 v10, 0xbe8c1d8e, v0, -v13
	v_mul_f32_e32 v14, 0xbf763a35, v36
	v_add_f32_e32 v36, v12, v45
	v_add_f32_e32 v45, v11, v46
	v_sub_f32_e32 v46, v3, v5
	v_sub_f32_e32 v51, v2, v4
	v_add_f32_e32 v47, v10, v23
	v_fmamk_f32 v10, v1, 0xbe8c1d8e, v14
	v_add_f32_e32 v50, v4, v2
	v_mul_f32_e32 v2, 0xbe3c28d5, v46
	v_fmac_f32_e32 v13, 0xbe8c1d8e, v0
	v_fma_f32 v0, 0xbe8c1d8e, v1, -v14
	v_add_f32_e32 v52, v5, v3
	v_mul_f32_e32 v1, 0xbe3c28d5, v51
	v_fma_f32 v3, 0xbf7ba420, v50, -v2
	v_add_f32_e32 v37, v10, v37
	v_mul_f32_e32 v10, 0x3eb8f4ab, v46
	v_fmac_f32_e32 v2, 0xbf7ba420, v50
	v_fmamk_f32 v4, v52, 0xbf7ba420, v1
	v_mul_f32_e32 v5, 0x3eb8f4ab, v51
	v_add_f32_e32 v54, v0, v28
	v_add_f32_e32 v0, v3, v20
	v_fma_f32 v3, 0xbf7ba420, v52, -v1
	v_add_f32_e32 v1, v4, v21
	v_fma_f32 v4, 0x3f6eb680, v50, -v10
	v_add_f32_e32 v2, v2, v6
	v_fmamk_f32 v6, v52, 0x3f6eb680, v5
	v_fmac_f32_e32 v10, 0x3f6eb680, v50
	v_mul_f32_e32 v12, 0xbf06c442, v46
	v_add_f32_e32 v3, v3, v7
	v_fma_f32 v7, 0x3f6eb680, v52, -v5
	v_add_f32_e32 v5, v6, v24
	v_add_f32_e32 v6, v10, v16
	v_mul_f32_e32 v16, 0x3f2c7751, v46
	v_mul_f32_e32 v24, 0x3f65296c, v46
	v_add_f32_e32 v53, v13, v29
	v_add_f32_e32 v4, v4, v19
	v_fma_f32 v11, 0xbf59a7d5, v50, -v12
	v_mul_f32_e32 v13, 0xbf06c442, v51
	v_fmac_f32_e32 v12, 0xbf59a7d5, v50
	v_mul_f32_e32 v15, 0x3f2c7751, v51
	v_mul_f32_e32 v20, 0xbf4c4adb, v46
	;; [unrolled: 1-line block ×3, first 2 shown]
	v_fma_f32 v14, 0x3f3d2fb0, v50, -v16
	v_fmac_f32_e32 v16, 0x3f3d2fb0, v50
	v_fma_f32 v23, 0x3ee437d1, v50, -v24
	v_fmac_f32_e32 v24, 0x3ee437d1, v50
	v_add_f32_e32 v7, v7, v17
	v_add_f32_e32 v10, v11, v25
	v_fmamk_f32 v11, v52, 0xbf59a7d5, v13
	v_fma_f32 v13, 0xbf59a7d5, v52, -v13
	v_add_f32_e32 v12, v12, v18
	v_fmamk_f32 v17, v52, 0x3f3d2fb0, v15
	v_fma_f32 v18, 0x3f3d2fb0, v52, -v15
	v_fma_f32 v21, 0xbf1a4643, v50, -v20
	v_fmamk_f32 v22, v52, 0xbf1a4643, v19
	v_mul_f32_e32 v25, 0x3f65296c, v51
	v_mul_f32_e32 v28, 0xbf763a35, v46
	;; [unrolled: 1-line block ×3, first 2 shown]
	v_add_f32_e32 v16, v16, v30
	v_fmac_f32_e32 v20, 0xbf1a4643, v50
	v_add_f32_e32 v24, v24, v32
	v_mul_f32_e32 v32, 0x3f7ee86f, v46
	v_mul_f32_e32 v30, 0x3f7ee86f, v51
	v_add_f32_e32 v11, v11, v26
	v_add_f32_e32 v13, v13, v27
	;; [unrolled: 1-line block ×5, first 2 shown]
	v_fma_f32 v21, 0xbf1a4643, v52, -v19
	v_add_f32_e32 v19, v22, v31
	v_add_f32_e32 v22, v23, v41
	v_fmamk_f32 v23, v52, 0x3ee437d1, v25
	v_fma_f32 v26, 0xbe8c1d8e, v50, -v28
	v_fmamk_f32 v27, v52, 0xbe8c1d8e, v29
	v_add_f32_e32 v20, v20, v33
	v_fma_f32 v31, 0x3dbcf732, v50, -v32
	v_fmamk_f32 v33, v52, 0x3dbcf732, v30
	v_fmac_f32_e32 v32, 0x3dbcf732, v50
	v_fma_f32 v35, 0x3dbcf732, v52, -v30
	v_fma_f32 v25, 0x3ee437d1, v52, -v25
	v_fmac_f32_e32 v28, 0xbe8c1d8e, v50
	v_fma_f32 v29, 0xbe8c1d8e, v52, -v29
	v_add_f32_e32 v14, v14, v48
	v_add_f32_e32 v23, v23, v43
	;; [unrolled: 1-line block ×12, first 2 shown]
	ds_write2_b64 v34, v[8:9], v[0:1] offset1:1
	ds_write2_b64 v34, v[4:5], v[10:11] offset0:2 offset1:3
	ds_write2_b64 v34, v[14:15], v[18:19] offset0:4 offset1:5
	;; [unrolled: 1-line block ×7, first 2 shown]
	v_lshlrev_b32_e32 v24, 7, v114
	ds_write_b64 v34, v[2:3] offset:128
	s_waitcnt lgkmcnt(0)
	s_barrier
	buffer_gl0_inv
	s_clause 0x2
	global_load_dwordx4 v[4:7], v24, s[16:17]
	global_load_dwordx4 v[0:3], v24, s[16:17] offset:16
	global_load_dwordx4 v[8:11], v24, s[16:17] offset:32
	v_mul_lo_u32 v38, v113, v114
	v_add_nc_u32_e32 v25, 17, v114
	v_add_nc_u32_e32 v33, 34, v114
	;; [unrolled: 1-line block ×3, first 2 shown]
	s_clause 0x2
	global_load_dwordx4 v[20:23], v24, s[16:17] offset:48
	global_load_dwordx4 v[16:19], v24, s[16:17] offset:64
	;; [unrolled: 1-line block ×3, first 2 shown]
	v_add_nc_u32_e32 v36, 0x55, v114
	v_mul_lo_u32 v42, v113, v25
	v_mul_lo_u32 v50, v113, v33
	v_bfe_u32 v32, v38, 8, 8
	v_lshlrev_b32_sdwa v34, v116, v38 dst_sel:DWORD dst_unused:UNUSED_PAD src0_sel:DWORD src1_sel:BYTE_0
	s_clause 0x1
	global_load_dwordx4 v[28:31], v24, s[16:17] offset:96
	global_load_dwordx4 v[24:27], v24, s[16:17] offset:112
	v_mul_lo_u32 v51, v113, v35
	v_add_nc_u32_e32 v35, 0x44, v114
	v_lshl_or_b32 v32, v32, 3, 0x800
	v_bfe_u32 v33, v42, 8, 8
	s_clause 0x1
	global_load_dwordx2 v[76:77], v34, s[8:9]
	global_load_dwordx2 v[78:79], v32, s[8:9]
	v_lshlrev_b32_sdwa v32, v116, v42 dst_sel:DWORD dst_unused:UNUSED_PAD src0_sel:DWORD src1_sel:BYTE_0
	v_lshl_or_b32 v33, v33, 3, 0x800
	v_bfe_u32 v34, v50, 8, 8
	s_clause 0x1
	global_load_dwordx2 v[80:81], v32, s[8:9]
	global_load_dwordx2 v[82:83], v33, s[8:9]
	v_lshlrev_b32_sdwa v32, v116, v50 dst_sel:DWORD dst_unused:UNUSED_PAD src0_sel:DWORD src1_sel:BYTE_0
	v_mul_lo_u32 v52, v113, v35
	v_lshl_or_b32 v33, v34, 3, 0x800
	v_bfe_u32 v34, v51, 8, 8
	v_mul_lo_u32 v60, v113, v36
	s_clause 0x1
	global_load_dwordx2 v[84:85], v32, s[8:9]
	global_load_dwordx2 v[86:87], v33, s[8:9]
	v_add_nc_u32_e32 v33, 0x66, v114
	v_lshlrev_b32_sdwa v35, v116, v51 dst_sel:DWORD dst_unused:UNUSED_PAD src0_sel:DWORD src1_sel:BYTE_0
	v_lshl_or_b32 v32, v34, 3, 0x800
	v_bfe_u32 v34, v52, 8, 8
	s_clause 0x1
	global_load_dwordx2 v[88:89], v35, s[8:9]
	global_load_dwordx2 v[90:91], v32, s[8:9]
	v_mul_lo_u32 v61, v113, v33
	v_lshlrev_b32_sdwa v32, v116, v52 dst_sel:DWORD dst_unused:UNUSED_PAD src0_sel:DWORD src1_sel:BYTE_0
	v_bfe_u32 v35, v60, 8, 8
	v_lshl_or_b32 v33, v34, 3, 0x800
	v_add_nc_u32_e32 v34, 0x77, v114
	v_lshlrev_b32_sdwa v36, v116, v60 dst_sel:DWORD dst_unused:UNUSED_PAD src0_sel:DWORD src1_sel:BYTE_0
	s_clause 0x1
	global_load_dwordx2 v[144:145], v32, s[8:9]
	global_load_dwordx2 v[146:147], v33, s[8:9]
	v_lshl_or_b32 v33, v35, 3, 0x800
	v_mul_lo_u32 v62, v113, v34
	v_bfe_u32 v32, v61, 8, 8
	v_add_nc_u32_e32 v34, 0x88, v114
	s_clause 0x1
	global_load_dwordx2 v[148:149], v36, s[8:9]
	global_load_dwordx2 v[150:151], v33, s[8:9]
	v_lshlrev_b32_sdwa v35, v116, v61 dst_sel:DWORD dst_unused:UNUSED_PAD src0_sel:DWORD src1_sel:BYTE_0
	v_add_nc_u32_e32 v36, 0x99, v114
	v_lshl_or_b32 v32, v32, 3, 0x800
	v_mul_lo_u32 v63, v113, v34
	v_bfe_u32 v33, v62, 8, 8
	s_clause 0x1
	global_load_dwordx2 v[152:153], v35, s[8:9]
	global_load_dwordx2 v[154:155], v32, s[8:9]
	v_mul_lo_u32 v68, v113, v36
	v_add_nc_u32_e32 v32, 0xaa, v114
	v_add_nc_u32_e32 v37, 0xbb, v114
	v_lshlrev_b32_sdwa v34, v116, v62 dst_sel:DWORD dst_unused:UNUSED_PAD src0_sel:DWORD src1_sel:BYTE_0
	v_bfe_u32 v35, v63, 8, 8
	v_lshl_or_b32 v33, v33, 3, 0x800
	v_mul_lo_u32 v69, v113, v32
	v_mul_lo_u32 v70, v113, v37
	v_lshlrev_b32_sdwa v36, v116, v63 dst_sel:DWORD dst_unused:UNUSED_PAD src0_sel:DWORD src1_sel:BYTE_0
	v_bfe_u32 v32, v68, 8, 8
	s_clause 0x1
	global_load_dwordx2 v[156:157], v34, s[8:9]
	global_load_dwordx2 v[158:159], v33, s[8:9]
	v_lshl_or_b32 v33, v35, 3, 0x800
	v_add_nc_u32_e32 v37, 0xcc, v114
	v_add_nc_u32_e32 v41, 0xdd, v114
	v_lshlrev_b32_sdwa v34, v116, v68 dst_sel:DWORD dst_unused:UNUSED_PAD src0_sel:DWORD src1_sel:BYTE_0
	v_lshl_or_b32 v35, v32, 3, 0x800
	s_clause 0x1
	global_load_dwordx2 v[160:161], v36, s[8:9]
	global_load_dwordx2 v[162:163], v33, s[8:9]
	v_bfe_u32 v36, v69, 8, 8
	v_mul_lo_u32 v128, v113, v37
	v_mul_lo_u32 v131, v113, v41
	v_bfe_u32 v39, v70, 8, 8
	v_lshlrev_b32_sdwa v40, v116, v69 dst_sel:DWORD dst_unused:UNUSED_PAD src0_sel:DWORD src1_sel:BYTE_0
	s_clause 0x1
	global_load_dwordx2 v[32:33], v34, s[8:9]
	global_load_dwordx2 v[34:35], v35, s[8:9]
	v_lshl_or_b32 v36, v36, 3, 0x800
	v_lshlrev_b32_sdwa v43, v116, v70 dst_sel:DWORD dst_unused:UNUSED_PAD src0_sel:DWORD src1_sel:BYTE_0
	v_lshl_or_b32 v39, v39, 3, 0x800
	s_clause 0x3
	global_load_dwordx2 v[44:45], v40, s[8:9]
	global_load_dwordx2 v[46:47], v36, s[8:9]
	;; [unrolled: 1-line block ×4, first 2 shown]
	v_bfe_u32 v39, v128, 8, 8
	v_bfe_u32 v40, v131, 8, 8
	v_lshlrev_b32_sdwa v41, v116, v128 dst_sel:DWORD dst_unused:UNUSED_PAD src0_sel:DWORD src1_sel:BYTE_0
	v_bfe_u32 v48, v38, 16, 8
	v_lshlrev_b32_sdwa v49, v116, v131 dst_sel:DWORD dst_unused:UNUSED_PAD src0_sel:DWORD src1_sel:BYTE_0
	v_lshl_or_b32 v43, v39, 3, 0x800
	v_lshl_or_b32 v53, v40, 3, 0x800
	s_clause 0x1
	global_load_dwordx2 v[38:39], v41, s[8:9]
	global_load_dwordx2 v[40:41], v43, s[8:9]
	v_lshl_or_b32 v54, v48, 3, 0x1000
	v_bfe_u32 v55, v42, 16, 8
	s_clause 0x1
	global_load_dwordx2 v[42:43], v49, s[8:9]
	global_load_dwordx2 v[48:49], v53, s[8:9]
	v_bfe_u32 v53, v51, 16, 8
	v_bfe_u32 v58, v50, 16, 8
	global_load_dwordx2 v[50:51], v54, s[8:9]
	v_lshl_or_b32 v54, v55, 3, 0x1000
	v_bfe_u32 v64, v52, 16, 8
	v_lshl_or_b32 v53, v53, 3, 0x1000
	v_lshl_or_b32 v58, v58, 3, 0x1000
	v_bfe_u32 v60, v60, 16, 8
	s_clause 0x2
	global_load_dwordx2 v[54:55], v54, s[8:9]
	global_load_dwordx2 v[52:53], v53, s[8:9]
	;; [unrolled: 1-line block ×3, first 2 shown]
	v_lshl_or_b32 v64, v64, 3, 0x1000
	v_bfe_u32 v62, v62, 16, 8
	v_bfe_u32 v71, v63, 16, 8
	v_lshl_or_b32 v60, v60, 3, 0x1000
	v_bfe_u32 v66, v61, 16, 8
	v_bfe_u32 v68, v68, 16, 8
	;; [unrolled: 1-line block ×4, first 2 shown]
	s_clause 0x1
	global_load_dwordx2 v[64:65], v64, s[8:9]
	global_load_dwordx2 v[60:61], v60, s[8:9]
	v_lshl_or_b32 v62, v62, 3, 0x1000
	v_lshl_or_b32 v71, v71, 3, 0x1000
	;; [unrolled: 1-line block ×6, first 2 shown]
	s_clause 0x5
	global_load_dwordx2 v[62:63], v62, s[8:9]
	global_load_dwordx2 v[66:67], v66, s[8:9]
	;; [unrolled: 1-line block ×6, first 2 shown]
	ds_read2_b64 v[117:120], v112 offset0:17 offset1:34
	ds_read2_b32 v[122:123], v112 offset0:102 offset1:103
	ds_read2_b64 v[132:135], v112 offset0:68 offset1:85
	ds_read2_b64 v[136:139], v112 offset0:102 offset1:119
	;; [unrolled: 1-line block ×3, first 2 shown]
	ds_read_b64 v[164:165], v112 offset:2176
	s_waitcnt vmcnt(47) lgkmcnt(5)
	v_mul_f32_e32 v121, v5, v118
	v_mul_f32_e32 v130, v5, v117
	;; [unrolled: 1-line block ×4, first 2 shown]
	s_waitcnt vmcnt(46) lgkmcnt(4)
	v_mul_f32_e32 v125, v1, v122
	v_fma_f32 v129, v4, v117, -v121
	v_fmac_f32_e32 v130, v4, v118
	v_fma_f32 v127, v6, v119, -v5
	v_mul_f32_e32 v117, v123, v1
	v_fmac_f32_e32 v124, v6, v120
	ds_read2_b64 v[4:7], v112 offset0:136 offset1:153
	s_waitcnt lgkmcnt(4)
	v_mul_f32_e32 v1, v133, v3
	v_fmac_f32_e32 v125, v123, v0
	v_fma_f32 v126, v0, v122, -v117
	v_mul_f32_e32 v122, v132, v3
	s_waitcnt vmcnt(45)
	v_mul_f32_e32 v117, v135, v9
	v_mul_f32_e32 v119, v134, v9
	v_fma_f32 v123, v132, v2, -v1
	s_waitcnt lgkmcnt(3)
	v_mul_f32_e32 v9, v137, v11
	v_fmac_f32_e32 v122, v133, v2
	ds_read2_b64 v[0:3], v112 offset0:204 offset1:221
	v_fma_f32 v121, v134, v8, -v117
	v_fmac_f32_e32 v119, v135, v8
	ds_read2_b64 v[132:135], v112 offset0:238 offset1:255
	v_mul_f32_e32 v118, v136, v11
	s_waitcnt vmcnt(44)
	v_mul_f32_e32 v11, v139, v21
	v_mul_f32_e32 v21, v138, v21
	v_fma_f32 v120, v136, v10, -v9
	v_fmac_f32_e32 v118, v137, v10
	s_waitcnt lgkmcnt(2)
	v_mul_f32_e32 v8, v5, v23
	v_fma_f32 v117, v138, v20, -v11
	v_mul_f32_e32 v10, v4, v23
	s_waitcnt vmcnt(43)
	v_mul_f32_e32 v9, v7, v17
	v_mul_f32_e32 v11, v6, v17
	v_fma_f32 v17, v4, v22, -v8
	v_mul_f32_e32 v4, v141, v19
	v_fmac_f32_e32 v21, v139, v20
	v_fmac_f32_e32 v10, v5, v22
	v_fma_f32 v20, v6, v16, -v9
	v_fmac_f32_e32 v11, v7, v16
	v_mul_f32_e32 v16, v140, v19
	s_waitcnt vmcnt(42)
	v_mul_f32_e32 v5, v143, v13
	v_mul_f32_e32 v19, v142, v13
	v_fma_f32 v13, v140, v18, -v4
	s_waitcnt lgkmcnt(1)
	v_mul_f32_e32 v4, v1, v15
	v_fmac_f32_e32 v16, v141, v18
	v_fma_f32 v18, v142, v12, -v5
	v_mul_f32_e32 v15, v0, v15
	v_fmac_f32_e32 v19, v143, v12
	v_fma_f32 v12, v0, v14, -v4
	s_waitcnt vmcnt(41) lgkmcnt(0)
	v_mul_f32_e32 v0, v133, v31
	s_waitcnt vmcnt(40)
	v_mul_f32_e32 v8, v134, v25
	v_fmac_f32_e32 v15, v1, v14
	v_mul_f32_e32 v1, v135, v25
	v_mul_f32_e32 v23, v132, v31
	v_fma_f32 v25, v132, v30, -v0
	v_mul_f32_e32 v0, v165, v27
	v_fmac_f32_e32 v8, v135, v24
	v_fma_f32 v9, v134, v24, -v1
	s_waitcnt vmcnt(36)
	v_mul_f32_e32 v1, v81, v83
	v_mul_f32_e32 v31, v76, v79
	v_fma_f32 v24, v164, v26, -v0
	v_mul_f32_e32 v0, v77, v79
	v_mul_f32_e32 v79, v80, v83
	v_fma_f32 v83, v80, v82, -v1
	s_waitcnt vmcnt(32)
	v_mul_f32_e32 v1, v89, v91
	v_mul_f32_e32 v5, v3, v29
	v_fma_f32 v132, v76, v78, -v0
	v_mul_f32_e32 v0, v85, v87
	v_mul_f32_e32 v76, v88, v91
	v_fmac_f32_e32 v79, v81, v82
	v_mul_f32_e32 v81, v84, v87
	v_fma_f32 v82, v88, v90, -v1
	v_fma_f32 v91, v84, v86, -v0
	s_waitcnt vmcnt(28)
	v_mul_f32_e32 v0, v149, v151
	v_fmac_f32_e32 v76, v89, v90
	s_waitcnt vmcnt(26)
	v_mul_f32_e32 v1, v153, v155
	v_mul_f32_e32 v22, v2, v29
	v_fma_f32 v14, v2, v28, -v5
	v_fma_f32 v90, v148, v150, -v0
	s_waitcnt vmcnt(24)
	v_mul_f32_e32 v0, v157, v159
	v_mul_f32_e32 v2, v145, v147
	v_fmac_f32_e32 v23, v133, v30
	v_fmac_f32_e32 v81, v85, v86
	v_fma_f32 v86, v152, v154, -v1
	s_waitcnt vmcnt(22)
	v_mul_f32_e32 v1, v161, v163
	v_fma_f32 v133, v156, v158, -v0
	v_add_nc_u32_e32 v0, 0xee, v114
	v_fma_f32 v84, v144, v146, -v2
	s_waitcnt vmcnt(20)
	v_mul_f32_e32 v2, v33, v35
	v_fma_f32 v88, v160, v162, -v1
	s_waitcnt vmcnt(18)
	v_mul_f32_e32 v1, v45, v47
	v_mul_f32_e32 v134, v44, v47
	v_mul_lo_u32 v47, v113, v0
	v_fmac_f32_e32 v22, v3, v28
	v_bfe_u32 v3, v128, 16, 8
	v_fma_f32 v89, v32, v34, -v2
	s_waitcnt vmcnt(16)
	v_mul_f32_e32 v2, v37, v57
	v_mul_f32_e32 v27, v164, v27
	v_fmac_f32_e32 v134, v45, v46
	v_lshl_or_b32 v0, v3, 3, 0x1000
	v_bfe_u32 v3, v131, 16, 8
	v_fma_f32 v45, v36, v56, -v2
	v_bfe_u32 v2, v47, 8, 8
	v_fmac_f32_e32 v27, v165, v26
	v_fmac_f32_e32 v31, v77, v78
	v_mul_f32_e32 v32, v32, v35
	v_lshl_or_b32 v3, v3, 3, 0x1000
	s_waitcnt vmcnt(14)
	v_mul_f32_e32 v29, v39, v41
	v_mul_f32_e32 v26, v38, v41
	v_lshlrev_b32_sdwa v6, v116, v47 dst_sel:DWORD dst_unused:UNUSED_PAD src0_sel:DWORD src1_sel:BYTE_0
	v_lshl_or_b32 v7, v2, 3, 0x800
	v_mul_f32_e32 v77, v148, v151
	v_fmac_f32_e32 v32, v33, v34
	v_fma_f32 v44, v44, v46, -v1
	s_clause 0x3
	global_load_dwordx2 v[0:1], v0, s[8:9]
	global_load_dwordx2 v[4:5], v3, s[8:9]
	;; [unrolled: 1-line block ×4, first 2 shown]
	s_waitcnt vmcnt(15)
	v_mul_f32_e32 v34, v31, v51
	v_fma_f32 v30, v38, v40, -v29
	v_fmac_f32_e32 v26, v39, v40
	ds_read_b64 v[39:40], v115
	v_mul_f32_e32 v85, v144, v147
	v_fmac_f32_e32 v77, v149, v150
	v_mul_f32_e32 v33, v43, v49
	v_fma_f32 v135, v50, v132, -v34
	s_waitcnt vmcnt(12)
	v_mul_f32_e32 v34, v81, v59
	v_fmac_f32_e32 v85, v145, v146
	v_mul_f32_e32 v87, v156, v159
	v_mul_f32_e32 v57, v36, v57
	v_fma_f32 v29, v42, v48, -v33
	v_mul_f32_e32 v33, v79, v55
	v_fma_f32 v139, v58, v91, -v34
	s_waitcnt vmcnt(10)
	v_mul_f32_e32 v34, v77, v61
	v_mul_f32_e32 v78, v152, v155
	v_fmac_f32_e32 v87, v157, v158
	v_fmac_f32_e32 v57, v37, v56
	v_mul_f32_e32 v41, v132, v51
	v_fma_f32 v137, v54, v83, -v33
	v_mul_f32_e32 v33, v85, v65
	v_fma_f32 v191, v60, v90, -v34
	s_waitcnt vmcnt(4)
	v_mul_f32_e32 v34, v134, v71
	v_mul_f32_e32 v37, v44, v71
	v_fmac_f32_e32 v78, v153, v154
	v_mul_f32_e32 v80, v160, v163
	v_fmac_f32_e32 v41, v50, v31
	v_mul_f32_e32 v31, v76, v53
	v_mul_f32_e32 v143, v82, v53
	v_fma_f32 v167, v64, v84, -v33
	v_mul_f32_e32 v33, v87, v63
	v_fma_f32 v34, v70, v44, -v34
	v_fmac_f32_e32 v37, v70, v134
	s_waitcnt lgkmcnt(0)
	v_add_f32_e32 v70, v130, v40
	v_fmac_f32_e32 v80, v161, v162
	v_fma_f32 v152, v52, v82, -v31
	v_fmac_f32_e32 v143, v52, v76
	v_mul_f32_e32 v31, v78, v67
	v_fma_f32 v52, v62, v133, -v33
	v_mul_f32_e32 v33, v32, v73
	v_mul_f32_e32 v35, v89, v73
	v_add_f32_e32 v73, v129, v39
	v_add_f32_e32 v70, v70, v124
	v_mul_f32_e32 v28, v42, v49
	v_fma_f32 v193, v66, v86, -v31
	v_mul_f32_e32 v31, v80, v75
	v_add_f32_e32 v73, v73, v127
	v_add_f32_e32 v70, v70, v125
	v_fmac_f32_e32 v28, v43, v48
	v_mul_f32_e32 v136, v91, v59
	v_mul_f32_e32 v144, v84, v65
	;; [unrolled: 1-line block ×4, first 2 shown]
	v_fma_f32 v36, v74, v88, -v31
	v_fmac_f32_e32 v35, v72, v32
	v_sub_f32_e32 v42, v130, v27
	v_mul_f32_e32 v31, v57, v69
	v_mul_f32_e32 v32, v45, v69
	v_sub_f32_e32 v48, v129, v24
	v_add_f32_e32 v73, v73, v126
	v_add_f32_e32 v70, v70, v122
	v_mul_f32_e32 v132, v83, v55
	v_fmac_f32_e32 v136, v58, v81
	v_mul_f32_e32 v192, v86, v67
	v_fmac_f32_e32 v171, v60, v77
	v_fmac_f32_e32 v65, v62, v87
	v_mul_f32_e32 v38, v88, v75
	v_add_f32_e32 v43, v129, v24
	v_mul_f32_e32 v44, 0xbeb8f4ab, v42
	v_fma_f32 v31, v68, v45, -v31
	v_mul_f32_e32 v45, 0xbf2c7751, v42
	v_fmac_f32_e32 v32, v68, v57
	v_mul_f32_e32 v53, 0xbf65296c, v42
	v_mul_f32_e32 v55, 0xbf7ee86f, v42
	;; [unrolled: 1-line block ×6, first 2 shown]
	v_add_f32_e32 v50, v130, v27
	v_mul_f32_e32 v51, 0xbeb8f4ab, v48
	v_mul_f32_e32 v58, 0xbf2c7751, v48
	;; [unrolled: 1-line block ×8, first 2 shown]
	v_add_f32_e32 v73, v73, v123
	v_add_f32_e32 v70, v70, v119
	v_fmac_f32_e32 v132, v54, v79
	v_fmac_f32_e32 v144, v64, v85
	;; [unrolled: 1-line block ×4, first 2 shown]
	v_fma_f32 v33, v72, v89, -v33
	v_fma_f32 v46, 0x3f6eb680, v43, -v44
	v_fmac_f32_e32 v44, 0x3f6eb680, v43
	v_fma_f32 v49, 0x3f3d2fb0, v43, -v45
	v_fmac_f32_e32 v45, 0x3f3d2fb0, v43
	;; [unrolled: 2-line block ×8, first 2 shown]
	v_fmamk_f32 v43, v50, 0x3f6eb680, v51
	v_fma_f32 v51, 0x3f6eb680, v50, -v51
	v_fmamk_f32 v67, v50, 0x3f3d2fb0, v58
	v_fma_f32 v58, 0x3f3d2fb0, v50, -v58
	;; [unrolled: 2-line block ×8, first 2 shown]
	v_add_f32_e32 v50, v73, v121
	v_add_f32_e32 v70, v70, v118
	;; [unrolled: 1-line block ×12, first 2 shown]
	v_sub_f32_e32 v150, v124, v8
	v_sub_f32_e32 v155, v127, v9
	v_add_f32_e32 v84, v54, v39
	v_add_f32_e32 v44, v44, v17
	;; [unrolled: 1-line block ×9, first 2 shown]
	v_mul_f32_e32 v82, 0xbf2c7751, v150
	v_add_f32_e32 v76, v124, v8
	v_add_f32_e32 v44, v44, v13
	;; [unrolled: 1-line block ×3, first 2 shown]
	v_mul_f32_e32 v83, 0xbf2c7751, v155
	v_sub_f32_e32 v149, v125, v23
	v_sub_f32_e32 v156, v126, v25
	v_add_f32_e32 v44, v44, v18
	v_add_f32_e32 v45, v45, v15
	v_add_f32_e32 v46, v46, v39
	v_add_f32_e32 v43, v43, v40
	v_add_f32_e32 v50, v58, v40
	v_add_f32_e32 v44, v44, v12
	v_add_f32_e32 v45, v45, v22
	v_add_f32_e32 v58, v55, v39
	v_add_f32_e32 v55, v68, v40
	v_add_f32_e32 v174, v77, v40
	v_add_f32_e32 v44, v44, v14
	v_add_f32_e32 v45, v45, v23
	v_add_f32_e32 v195, v78, v40
	v_add_f32_e32 v68, v125, v23
	v_add_f32_e32 v70, v126, v25
	v_add_f32_e32 v44, v44, v25
	v_add_f32_e32 v45, v45, v8
	v_mul_f32_e32 v77, 0xbf65296c, v149
	v_mul_f32_e32 v78, 0xbf65296c, v156
	v_sub_f32_e32 v151, v122, v22
	v_add_f32_e32 v44, v44, v9
	v_add_f32_e32 v60, v45, v27
	v_sub_f32_e32 v158, v123, v14
	v_add_f32_e32 v133, v57, v39
	v_add_f32_e32 v168, v74, v40
	;; [unrolled: 1-line block ×3, first 2 shown]
	v_mul_f32_e32 v27, v60, v41
	v_add_f32_e32 v57, v71, v40
	v_add_f32_e32 v194, v64, v39
	;; [unrolled: 1-line block ×3, first 2 shown]
	v_mul_f32_e32 v9, v24, v41
	v_fma_f32 v8, v24, v135, -v27
	v_fma_f32 v24, 0x3f3d2fb0, v75, -v82
	v_fmamk_f32 v27, v76, 0x3f3d2fb0, v83
	v_fma_f32 v25, 0x3ee437d1, v70, -v77
	v_add_f32_e32 v63, v123, v14
	v_mul_f32_e32 v71, 0xbf7ee86f, v151
	v_add_f32_e32 v23, v24, v46
	v_add_f32_e32 v24, v27, v43
	v_fmamk_f32 v27, v68, 0x3ee437d1, v78
	v_add_f32_e32 v64, v122, v22
	v_mul_f32_e32 v74, 0xbf7ee86f, v158
	v_sub_f32_e32 v154, v119, v15
	v_sub_f32_e32 v160, v121, v12
	v_add_f32_e32 v140, v66, v39
	v_add_f32_e32 v14, v25, v23
	;; [unrolled: 1-line block ×3, first 2 shown]
	v_fma_f32 v23, 0x3dbcf732, v63, -v71
	v_fmamk_f32 v24, v64, 0x3dbcf732, v74
	v_add_f32_e32 v44, v119, v15
	v_add_f32_e32 v45, v121, v12
	v_mul_f32_e32 v66, 0xbf763a35, v154
	v_mul_f32_e32 v67, 0xbf763a35, v160
	v_sub_f32_e32 v157, v118, v19
	v_sub_f32_e32 v163, v120, v18
	v_add_f32_e32 v51, v51, v40
	v_add_f32_e32 v87, v69, v40
	;; [unrolled: 1-line block ×9, first 2 shown]
	v_fma_f32 v15, 0xbe8c1d8e, v45, -v66
	v_fmamk_f32 v22, v44, 0xbe8c1d8e, v67
	v_add_f32_e32 v40, v120, v18
	v_mul_f32_e32 v46, 0xbf4c4adb, v157
	v_add_f32_e32 v41, v118, v19
	v_mul_f32_e32 v56, 0xbf4c4adb, v163
	v_sub_f32_e32 v161, v21, v16
	v_sub_f32_e32 v164, v117, v13
	v_add_f32_e32 v131, v42, v39
	v_add_f32_e32 v12, v15, v12
	;; [unrolled: 1-line block ×3, first 2 shown]
	v_fma_f32 v15, 0xbf1a4643, v40, -v46
	v_fmamk_f32 v18, v41, 0xbf1a4643, v56
	v_add_f32_e32 v24, v21, v16
	v_add_f32_e32 v25, v117, v13
	v_mul_f32_e32 v42, 0xbf06c442, v161
	v_mul_f32_e32 v43, 0xbf06c442, v164
	v_sub_f32_e32 v165, v17, v20
	v_add_f32_e32 v12, v15, v12
	v_add_f32_e32 v13, v18, v14
	v_fma_f32 v14, 0xbf59a7d5, v25, -v42
	v_fmamk_f32 v15, v24, 0xbf59a7d5, v43
	v_add_f32_e32 v22, v10, v11
	v_mul_f32_e32 v27, 0xbe3c28d5, v165
	v_mul_f32_e32 v124, 0xbf7ee86f, v155
	v_sub_f32_e32 v166, v10, v11
	v_mul_f32_e32 v125, 0xbf7ee86f, v150
	v_add_f32_e32 v53, v53, v39
	v_add_f32_e32 v12, v14, v12
	;; [unrolled: 1-line block ×3, first 2 shown]
	v_fmamk_f32 v14, v22, 0xbf7ba420, v27
	v_add_f32_e32 v23, v17, v20
	v_fmamk_f32 v10, v76, 0x3dbcf732, v124
	v_mul_f32_e32 v118, 0xbf4c4adb, v156
	v_mul_f32_e32 v39, 0xbe3c28d5, v166
	v_fma_f32 v11, 0x3dbcf732, v75, -v125
	v_mul_f32_e32 v119, 0xbf4c4adb, v149
	v_add_f32_e32 v13, v14, v13
	v_add_f32_e32 v10, v10, v81
	v_fmamk_f32 v14, v68, 0xbf1a4643, v118
	v_fma_f32 v15, 0xbf7ba420, v23, -v39
	v_mul_f32_e32 v89, 0xbe3c28d5, v158
	v_add_f32_e32 v11, v11, v73
	v_fma_f32 v16, 0xbf1a4643, v70, -v119
	v_mul_f32_e32 v90, 0xbe3c28d5, v151
	v_add_f32_e32 v10, v14, v10
	v_fmamk_f32 v14, v64, 0xbf7ba420, v89
	v_add_f32_e32 v12, v15, v12
	v_mul_f32_e32 v85, 0x3f06c442, v160
	v_add_f32_e32 v11, v16, v11
	v_fma_f32 v15, 0xbf7ba420, v63, -v90
	v_mul_f32_e32 v86, 0x3f06c442, v154
	v_add_f32_e32 v10, v14, v10
	v_fmamk_f32 v14, v44, 0xbf59a7d5, v85
	v_mul_f32_e32 v79, 0x3f763a35, v163
	v_add_f32_e32 v15, v15, v11
	v_fma_f32 v17, 0xbf59a7d5, v45, -v86
	v_mul_f32_e32 v80, 0x3f763a35, v157
	v_mul_f32_e32 v16, v13, v132
	v_add_f32_e32 v10, v14, v10
	v_fmamk_f32 v14, v41, 0xbe8c1d8e, v79
	v_mul_f32_e32 v72, 0x3f65296c, v164
	v_add_f32_e32 v15, v17, v15
	v_fma_f32 v17, 0xbe8c1d8e, v40, -v80
	v_mul_f32_e32 v73, 0x3f65296c, v161
	v_fmac_f32_e32 v9, v60, v135
	v_mul_f32_e32 v11, v12, v132
	v_add_f32_e32 v14, v14, v10
	v_fmamk_f32 v18, v24, 0x3ee437d1, v72
	v_fma_f32 v10, v12, v137, -v16
	v_mul_f32_e32 v60, 0x3eb8f4ab, v165
	v_add_f32_e32 v12, v17, v15
	v_fma_f32 v15, 0x3ee437d1, v25, -v73
	v_mul_f32_e32 v145, 0xbf4c4adb, v155
	v_mul_f32_e32 v146, 0xbf4c4adb, v150
	v_add_f32_e32 v14, v18, v14
	v_fmamk_f32 v16, v22, 0x3f6eb680, v60
	v_fmac_f32_e32 v11, v13, v137
	v_add_f32_e32 v12, v15, v12
	v_fmamk_f32 v13, v76, 0xbf1a4643, v145
	v_mul_f32_e32 v137, 0x3e3c28d5, v156
	v_mul_f32_e32 v69, 0x3eb8f4ab, v166
	v_fma_f32 v15, 0xbf1a4643, v75, -v146
	v_mul_f32_e32 v138, 0x3e3c28d5, v149
	v_add_f32_e32 v14, v16, v14
	v_add_f32_e32 v13, v13, v87
	v_fmamk_f32 v16, v68, 0xbf7ba420, v137
	v_fma_f32 v17, 0x3f6eb680, v23, -v69
	v_mul_f32_e32 v127, 0x3f763a35, v158
	v_add_f32_e32 v15, v15, v84
	v_fma_f32 v18, 0xbf7ba420, v70, -v138
	v_mul_f32_e32 v132, 0x3f763a35, v151
	v_add_f32_e32 v13, v16, v13
	v_fmamk_f32 v16, v64, 0xbe8c1d8e, v127
	v_add_f32_e32 v12, v17, v12
	v_mul_f32_e32 v120, 0x3f2c7751, v160
	v_add_f32_e32 v15, v18, v15
	v_fma_f32 v17, 0xbe8c1d8e, v63, -v132
	v_mul_f32_e32 v121, 0x3f2c7751, v154
	v_add_f32_e32 v13, v16, v13
	v_fmamk_f32 v16, v44, 0x3f3d2fb0, v120
	v_mul_f32_e32 v91, 0xbeb8f4ab, v163
	v_add_f32_e32 v15, v17, v15
	v_fma_f32 v17, 0x3f3d2fb0, v45, -v121
	v_mul_f32_e32 v115, 0xbeb8f4ab, v157
	v_add_f32_e32 v16, v16, v13
	v_fmamk_f32 v19, v41, 0x3f6eb680, v91
	v_mul_f32_e32 v87, 0xbf7ee86f, v164
	v_add_f32_e32 v15, v17, v15
	v_fma_f32 v17, 0x3f6eb680, v40, -v115
	v_mul_f32_e32 v88, 0xbf7ee86f, v161
	v_mul_f32_e32 v18, v14, v136
	v_mul_f32_e32 v13, v12, v136
	v_add_f32_e32 v16, v19, v16
	v_fmamk_f32 v19, v24, 0x3dbcf732, v87
	v_mul_f32_e32 v81, 0xbf06c442, v165
	v_add_f32_e32 v15, v17, v15
	v_fma_f32 v17, 0x3dbcf732, v25, -v88
	v_mul_f32_e32 v172, 0xbe3c28d5, v155
	v_mul_f32_e32 v173, 0xbe3c28d5, v150
	v_fma_f32 v12, v12, v139, -v18
	v_add_f32_e32 v16, v19, v16
	v_fmamk_f32 v18, v22, 0xbf59a7d5, v81
	v_fmac_f32_e32 v13, v14, v139
	v_add_f32_e32 v14, v17, v15
	v_fmamk_f32 v15, v76, 0xbf7ba420, v172
	v_mul_f32_e32 v159, 0x3f763a35, v156
	v_mul_f32_e32 v84, 0xbf06c442, v166
	v_fma_f32 v17, 0xbf7ba420, v75, -v173
	v_mul_f32_e32 v162, 0x3f763a35, v149
	v_add_f32_e32 v16, v18, v16
	v_add_f32_e32 v15, v15, v134
	v_fmamk_f32 v18, v68, 0xbe8c1d8e, v159
	v_fma_f32 v19, 0xbf59a7d5, v23, -v84
	v_mul_f32_e32 v147, 0x3eb8f4ab, v158
	v_add_f32_e32 v17, v17, v133
	v_fma_f32 v20, 0xbe8c1d8e, v70, -v162
	v_mul_f32_e32 v148, 0x3eb8f4ab, v151
	v_add_f32_e32 v15, v18, v15
	v_fmamk_f32 v18, v64, 0x3f6eb680, v147
	v_add_f32_e32 v14, v19, v14
	v_mul_f32_e32 v139, 0xbf65296c, v160
	v_add_f32_e32 v17, v20, v17
	v_fma_f32 v19, 0x3f6eb680, v63, -v148
	v_mul_f32_e32 v141, 0xbf65296c, v154
	v_add_f32_e32 v15, v18, v15
	v_fmamk_f32 v18, v44, 0x3ee437d1, v139
	v_mul_f32_e32 v133, 0xbf06c442, v163
	v_add_f32_e32 v17, v19, v17
	v_fma_f32 v19, 0x3ee437d1, v45, -v141
	v_mul_f32_e32 v134, 0xbf06c442, v157
	v_add_f32_e32 v18, v18, v15
	v_fmamk_f32 v21, v41, 0xbf59a7d5, v133
	v_mul_f32_e32 v123, 0x3f4c4adb, v164
	v_add_f32_e32 v17, v19, v17
	v_fma_f32 v19, 0xbf59a7d5, v40, -v134
	v_mul_f32_e32 v126, 0x3f4c4adb, v161
	v_mul_f32_e32 v20, v16, v143
	;; [unrolled: 1-line block ×3, first 2 shown]
	v_add_f32_e32 v18, v21, v18
	v_fmamk_f32 v21, v24, 0xbf1a4643, v123
	v_mul_f32_e32 v117, 0x3f2c7751, v165
	v_add_f32_e32 v17, v19, v17
	v_fma_f32 v19, 0xbf1a4643, v25, -v126
	v_mul_f32_e32 v183, 0x3f06c442, v155
	v_mul_f32_e32 v184, 0x3f06c442, v150
	v_fma_f32 v14, v14, v152, -v20
	v_add_f32_e32 v18, v21, v18
	v_fmamk_f32 v20, v22, 0x3f3d2fb0, v117
	v_fmac_f32_e32 v15, v16, v152
	v_add_f32_e32 v16, v19, v17
	v_fmamk_f32 v17, v76, 0xbf59a7d5, v183
	v_mul_f32_e32 v179, 0x3f2c7751, v156
	v_mul_f32_e32 v122, 0x3f2c7751, v166
	v_fma_f32 v19, 0xbf59a7d5, v75, -v184
	v_mul_f32_e32 v180, 0x3f2c7751, v149
	v_add_f32_e32 v18, v20, v18
	v_add_f32_e32 v17, v17, v168
	v_fmamk_f32 v20, v68, 0x3f3d2fb0, v179
	v_fma_f32 v21, 0x3f3d2fb0, v23, -v122
	v_mul_f32_e32 v175, 0xbf65296c, v158
	v_add_f32_e32 v19, v19, v153
	v_fma_f32 v135, 0x3f3d2fb0, v70, -v180
	v_mul_f32_e32 v176, 0xbf65296c, v151
	v_add_f32_e32 v17, v20, v17
	v_fmamk_f32 v20, v64, 0x3ee437d1, v175
	v_add_f32_e32 v16, v21, v16
	v_mul_f32_e32 v168, 0xbe3c28d5, v160
	v_add_f32_e32 v19, v135, v19
	v_fma_f32 v21, 0x3ee437d1, v63, -v176
	v_mul_f32_e32 v169, 0xbe3c28d5, v154
	v_add_f32_e32 v17, v20, v17
	v_fmamk_f32 v20, v44, 0xbf7ba420, v168
	v_mul_f32_e32 v153, 0x3f7ee86f, v157
	v_add_f32_e32 v19, v21, v19
	v_fma_f32 v21, 0xbf7ba420, v45, -v169
	v_mul_f32_e32 v136, v18, v144
	v_mul_f32_e32 v152, 0x3f7ee86f, v163
	v_add_f32_e32 v20, v20, v17
	v_mul_f32_e32 v17, v16, v144
	v_add_f32_e32 v19, v21, v19
	v_fma_f32 v21, 0x3dbcf732, v40, -v153
	v_mul_f32_e32 v144, 0xbeb8f4ab, v161
	v_fmamk_f32 v135, v41, 0x3dbcf732, v152
	v_mul_f32_e32 v143, 0xbeb8f4ab, v164
	v_mul_f32_e32 v189, 0x3f763a35, v150
	v_add_f32_e32 v19, v21, v19
	v_fma_f32 v21, 0x3f6eb680, v25, -v144
	v_mul_f32_e32 v190, 0x3f763a35, v155
	v_add_f32_e32 v20, v135, v20
	v_fmamk_f32 v177, v24, 0x3f6eb680, v143
	v_mul_f32_e32 v135, 0xbf4c4adb, v165
	v_fmac_f32_e32 v17, v18, v167
	v_add_f32_e32 v18, v21, v19
	v_fma_f32 v19, 0xbe8c1d8e, v75, -v189
	v_fmamk_f32 v21, v76, 0xbe8c1d8e, v190
	v_mul_f32_e32 v187, 0xbeb8f4ab, v149
	v_mul_f32_e32 v188, 0xbeb8f4ab, v156
	v_fma_f32 v16, v16, v167, -v136
	v_add_f32_e32 v20, v177, v20
	v_fmamk_f32 v136, v22, 0xbf1a4643, v135
	v_add_f32_e32 v19, v19, v170
	v_add_f32_e32 v21, v21, v174
	v_fma_f32 v167, 0x3f6eb680, v70, -v187
	v_fmamk_f32 v170, v68, 0x3f6eb680, v188
	v_mul_f32_e32 v185, 0xbf06c442, v151
	v_mul_f32_e32 v186, 0xbf06c442, v158
	v_add_f32_e32 v20, v136, v20
	v_mul_f32_e32 v136, 0xbf4c4adb, v166
	v_add_f32_e32 v19, v167, v19
	v_add_f32_e32 v21, v170, v21
	v_fma_f32 v167, 0xbf59a7d5, v63, -v185
	v_fmamk_f32 v170, v64, 0xbf59a7d5, v186
	v_mul_f32_e32 v181, 0x3f7ee86f, v154
	v_mul_f32_e32 v182, 0x3f7ee86f, v160
	v_fma_f32 v174, 0xbf1a4643, v23, -v136
	v_add_f32_e32 v19, v167, v19
	v_add_f32_e32 v21, v170, v21
	v_fma_f32 v167, 0x3dbcf732, v45, -v181
	v_fmamk_f32 v170, v44, 0x3dbcf732, v182
	v_mul_f32_e32 v177, 0xbf2c7751, v157
	v_mul_f32_e32 v178, 0xbf2c7751, v163
	v_add_f32_e32 v18, v174, v18
	v_add_f32_e32 v167, v167, v19
	;; [unrolled: 1-line block ×3, first 2 shown]
	v_fma_f32 v197, 0x3f3d2fb0, v40, -v177
	v_fmamk_f32 v198, v41, 0x3f3d2fb0, v178
	v_mul_f32_e32 v170, 0xbe3c28d5, v161
	v_mul_f32_e32 v174, 0xbe3c28d5, v164
	;; [unrolled: 1-line block ×4, first 2 shown]
	v_add_f32_e32 v197, v197, v167
	v_add_f32_e32 v21, v198, v21
	v_fma_f32 v198, 0xbf7ba420, v25, -v170
	v_fmamk_f32 v199, v24, 0xbf7ba420, v174
	v_mul_f32_e32 v171, 0x3f65296c, v165
	v_mul_f32_e32 v167, 0x3f65296c, v166
	v_fma_f32 v18, v18, v191, -v196
	v_add_f32_e32 v196, v198, v197
	v_add_f32_e32 v21, v199, v21
	v_fmamk_f32 v197, v22, 0x3ee437d1, v171
	v_fma_f32 v198, 0x3ee437d1, v23, -v167
	v_mul_f32_e32 v201, 0x3f65296c, v150
	v_mul_f32_e32 v202, 0x3f65296c, v155
	v_fmac_f32_e32 v19, v20, v191
	v_add_f32_e32 v191, v197, v21
	v_add_f32_e32 v20, v198, v196
	v_fma_f32 v21, 0x3ee437d1, v75, -v201
	v_fmamk_f32 v196, v76, 0x3ee437d1, v202
	v_mul_f32_e32 v203, 0xbf7ee86f, v149
	v_mul_f32_e32 v204, 0xbf7ee86f, v156
	;; [unrolled: 1-line block ×3, first 2 shown]
	v_add_f32_e32 v194, v21, v194
	v_add_f32_e32 v195, v196, v195
	v_fma_f32 v196, 0x3dbcf732, v70, -v203
	v_fmamk_f32 v198, v68, 0x3dbcf732, v204
	v_mul_f32_e32 v197, v191, v192
	v_mul_f32_e32 v21, v20, v192
	;; [unrolled: 1-line block ×3, first 2 shown]
	v_add_f32_e32 v192, v196, v194
	v_add_f32_e32 v194, v198, v195
	v_fma_f32 v195, 0xbf1a4643, v63, -v205
	v_mul_f32_e32 v206, 0x3f4c4adb, v158
	v_mul_f32_e32 v208, 0xbeb8f4ab, v160
	v_mul_f32_e32 v209, 0xbe3c28d5, v157
	v_fmac_f32_e32 v21, v191, v193
	v_add_f32_e32 v192, v195, v192
	v_fma_f32 v195, 0x3f6eb680, v45, -v207
	v_fmamk_f32 v196, v64, 0xbf1a4643, v206
	v_mul_f32_e32 v210, 0xbe3c28d5, v163
	v_fma_f32 v20, v20, v193, -v197
	v_fma_f32 v193, 0xbf7ba420, v40, -v209
	v_add_f32_e32 v191, v195, v192
	v_add_nc_u32_e32 v195, 0xff, v114
	v_add_nc_u32_e32 v114, 0x110, v114
	v_add_f32_e32 v194, v196, v194
	v_fmamk_f32 v196, v44, 0x3f6eb680, v208
	v_mul_f32_e32 v211, 0x3f2c7751, v161
	v_mul_lo_u32 v195, v113, v195
	v_mul_lo_u32 v199, v113, v114
	v_mul_f32_e32 v212, 0x3f2c7751, v164
	v_add_f32_e32 v192, v196, v194
	v_fmamk_f32 v194, v41, 0xbf7ba420, v210
	v_bfe_u32 v47, v47, 16, 8
	v_add_f32_e32 v191, v193, v191
	v_fma_f32 v193, 0x3f3d2fb0, v25, -v211
	v_bfe_u32 v113, v195, 8, 8
	v_add_f32_e32 v192, v194, v192
	v_fmamk_f32 v194, v24, 0x3f3d2fb0, v212
	v_lshl_or_b32 v47, v47, 3, 0x1000
	v_add_f32_e32 v214, v193, v191
	v_bfe_u32 v191, v199, 8, 8
	v_lshl_or_b32 v193, v113, 3, 0x800
	v_add_f32_e32 v200, v194, v192
	v_lshlrev_b32_sdwa v192, v116, v195 dst_sel:DWORD dst_unused:UNUSED_PAD src0_sel:DWORD src1_sel:BYTE_0
	v_lshlrev_b32_sdwa v116, v116, v199 dst_sel:DWORD dst_unused:UNUSED_PAD src0_sel:DWORD src1_sel:BYTE_0
	global_load_dwordx2 v[113:114], v47, s[8:9]
	v_lshl_or_b32 v47, v191, 3, 0x800
	v_mul_f32_e32 v213, 0xbf763a35, v165
	s_clause 0x1
	global_load_dwordx2 v[191:192], v192, s[8:9]
	global_load_dwordx2 v[193:194], v193, s[8:9]
	v_bfe_u32 v217, v195, 16, 8
	s_clause 0x1
	global_load_dwordx2 v[195:196], v116, s[8:9]
	global_load_dwordx2 v[197:198], v47, s[8:9]
	v_bfe_u32 v47, v199, 16, 8
	v_fmamk_f32 v215, v22, 0xbe8c1d8e, v213
	v_mul_f32_e32 v219, 0xbf06c442, v156
	v_lshl_or_b32 v199, v217, 3, 0x1000
	v_mul_f32_e32 v216, 0xbf763a35, v166
	v_lshl_or_b32 v47, v47, 3, 0x1000
	v_add_f32_e32 v116, v215, v200
	v_mul_f32_e32 v215, 0x3eb8f4ab, v155
	global_load_dwordx2 v[199:200], v199, s[8:9]
	v_fma_f32 v217, 0xbe8c1d8e, v23, -v216
	global_load_dwordx2 v[155:156], v47, s[8:9]
	v_mul_f32_e32 v218, 0x3eb8f4ab, v150
	v_fmamk_f32 v150, v76, 0x3f6eb680, v215
	v_mul_f32_e32 v158, 0x3f2c7751, v158
	v_add_f32_e32 v47, v217, v214
	v_mul_f32_e32 v217, 0xbf06c442, v149
	v_fma_f32 v214, 0x3f6eb680, v75, -v218
	v_add_f32_e32 v142, v150, v142
	v_fmamk_f32 v149, v68, 0xbf59a7d5, v219
	v_mul_f32_e32 v220, v116, v65
	v_mul_f32_e32 v151, 0x3f2c7751, v151
	v_add_f32_e32 v140, v214, v140
	v_fma_f32 v214, 0xbf59a7d5, v70, -v217
	v_add_f32_e32 v142, v149, v142
	v_fmamk_f32 v149, v64, 0x3f3d2fb0, v158
	v_mul_f32_e32 v150, v47, v65
	v_mul_f32_e32 v65, 0xbf4c4adb, v160
	v_add_f32_e32 v140, v214, v140
	v_fma_f32 v160, 0x3f3d2fb0, v63, -v151
	v_add_f32_e32 v142, v149, v142
	v_mul_f32_e32 v154, 0xbf4c4adb, v154
	v_fmamk_f32 v214, v44, 0xbf1a4643, v65
	v_fma_f32 v149, v47, v52, -v220
	v_mul_f32_e32 v47, 0x3f65296c, v163
	v_add_f32_e32 v140, v160, v140
	v_fma_f32 v160, 0xbf1a4643, v45, -v154
	v_add_f32_e32 v142, v214, v142
	v_mul_f32_e32 v157, 0x3f65296c, v157
	v_fmamk_f32 v163, v41, 0x3ee437d1, v47
	v_fmac_f32_e32 v150, v116, v52
	v_mul_f32_e32 v52, 0xbf763a35, v164
	v_add_f32_e32 v116, v160, v140
	v_fma_f32 v140, 0x3ee437d1, v40, -v157
	v_add_f32_e32 v142, v163, v142
	v_mul_f32_e32 v160, 0xbf763a35, v161
	v_fmamk_f32 v161, v24, 0xbe8c1d8e, v52
	v_fmac_f32_e32 v218, 0x3f6eb680, v75
	v_add_f32_e32 v116, v140, v116
	v_fmac_f32_e32 v217, 0xbf59a7d5, v70
	v_fma_f32 v140, 0xbe8c1d8e, v25, -v160
	v_add_f32_e32 v142, v161, v142
	v_fma_f32 v161, 0x3f6eb680, v76, -v215
	v_add_f32_e32 v131, v218, v131
	v_fmac_f32_e32 v151, 0x3f3d2fb0, v63
	v_add_f32_e32 v116, v140, v116
	v_fma_f32 v140, 0xbf59a7d5, v68, -v219
	v_add_f32_e32 v130, v161, v130
	v_add_f32_e32 v131, v217, v131
	v_fmac_f32_e32 v201, 0x3ee437d1, v75
	v_mul_f32_e32 v163, 0x3f7ee86f, v165
	v_mul_f32_e32 v161, 0x3f7ee86f, v166
	v_add_f32_e32 v130, v140, v130
	v_fma_f32 v140, 0x3f3d2fb0, v64, -v158
	v_add_f32_e32 v131, v151, v131
	v_fmac_f32_e32 v154, 0xbf1a4643, v45
	v_add_f32_e32 v128, v201, v128
	v_fmac_f32_e32 v203, 0x3dbcf732, v70
	v_add_f32_e32 v130, v140, v130
	v_fma_f32 v140, 0x3ee437d1, v76, -v202
	v_fmamk_f32 v164, v22, 0x3dbcf732, v163
	v_fma_f32 v158, 0x3dbcf732, v23, -v161
	v_fma_f32 v65, 0xbf1a4643, v44, -v65
	v_add_f32_e32 v131, v154, v131
	v_add_f32_e32 v129, v140, v129
	v_fma_f32 v140, 0x3dbcf732, v68, -v204
	v_fmac_f32_e32 v157, 0x3ee437d1, v40
	v_add_f32_e32 v128, v203, v128
	v_fmac_f32_e32 v205, 0xbf1a4643, v63
	v_add_f32_e32 v142, v164, v142
	v_add_f32_e32 v129, v140, v129
	v_fma_f32 v140, 0xbf1a4643, v64, -v206
	v_add_f32_e32 v116, v158, v116
	v_add_f32_e32 v65, v65, v130
	;; [unrolled: 1-line block ×4, first 2 shown]
	v_fma_f32 v47, 0x3ee437d1, v41, -v47
	v_add_f32_e32 v131, v140, v129
	v_fmac_f32_e32 v207, 0x3f6eb680, v45
	v_fma_f32 v151, 0x3f6eb680, v44, -v208
	v_mul_f32_e32 v140, v142, v38
	v_add_f32_e32 v47, v47, v65
	v_mul_f32_e32 v129, v116, v38
	v_fma_f32 v38, 0xbe8c1d8e, v24, -v52
	v_add_f32_e32 v52, v207, v128
	v_add_f32_e32 v65, v151, v131
	v_fmac_f32_e32 v209, 0xbf7ba420, v40
	v_fma_f32 v128, 0xbf7ba420, v41, -v210
	v_fmac_f32_e32 v160, 0xbe8c1d8e, v25
	v_add_f32_e32 v38, v38, v47
	v_fma_f32 v47, 0x3dbcf732, v22, -v163
	v_add_f32_e32 v52, v209, v52
	v_add_f32_e32 v65, v128, v65
	v_fmac_f32_e32 v211, 0x3f3d2fb0, v25
	v_fma_f32 v128, 0x3f3d2fb0, v24, -v212
	v_add_f32_e32 v130, v160, v130
	v_add_f32_e32 v47, v47, v38
	v_fmac_f32_e32 v161, 0x3dbcf732, v23
	v_add_f32_e32 v38, v211, v52
	v_add_f32_e32 v52, v128, v65
	v_fma_f32 v65, 0xbe8c1d8e, v22, -v213
	v_fmac_f32_e32 v216, 0xbe8c1d8e, v23
	v_fma_f32 v128, v116, v36, -v140
	v_add_f32_e32 v116, v161, v130
	v_mul_f32_e32 v130, v47, v35
	v_add_f32_e32 v52, v65, v52
	v_add_f32_e32 v65, v216, v38
	v_fmac_f32_e32 v129, v142, v36
	v_mul_f32_e32 v36, v116, v35
	v_fma_f32 v35, v116, v33, -v130
	v_mul_f32_e32 v116, v52, v37
	v_mul_f32_e32 v38, v65, v37
	v_fma_f32 v83, 0x3f3d2fb0, v76, -v83
	v_fmac_f32_e32 v173, 0xbf7ba420, v75
	v_fmac_f32_e32 v36, v47, v33
	v_fma_f32 v37, v65, v34, -v116
	v_fmac_f32_e32 v38, v52, v34
	v_add_f32_e32 v34, v83, v51
	v_fma_f32 v47, 0x3dbcf732, v76, -v124
	v_add_f32_e32 v51, v173, v58
	v_fma_f32 v58, 0x3ee437d1, v68, -v78
	v_fma_f32 v52, 0xbf7ba420, v76, -v172
	v_fmac_f32_e32 v82, 0x3f3d2fb0, v75
	v_add_f32_e32 v47, v47, v50
	v_fmac_f32_e32 v146, 0xbf1a4643, v75
	v_add_f32_e32 v34, v58, v34
	v_fma_f32 v58, 0xbf1a4643, v68, -v118
	v_add_f32_e32 v52, v52, v55
	v_add_f32_e32 v33, v82, v48
	v_fma_f32 v48, 0xbf1a4643, v76, -v145
	v_fmac_f32_e32 v184, 0xbf59a7d5, v75
	v_add_f32_e32 v47, v58, v47
	v_fma_f32 v58, 0xbe8c1d8e, v68, -v159
	v_add_f32_e32 v50, v146, v53
	v_add_f32_e32 v48, v48, v54
	v_fma_f32 v53, 0xbf59a7d5, v76, -v183
	v_add_f32_e32 v55, v184, v59
	v_add_f32_e32 v52, v58, v52
	v_fma_f32 v58, 0x3dbcf732, v64, -v74
	v_fma_f32 v59, 0xbf7ba420, v68, -v137
	v_fmac_f32_e32 v125, 0x3dbcf732, v75
	v_fmac_f32_e32 v189, 0xbe8c1d8e, v75
	v_fma_f32 v54, 0xbe8c1d8e, v76, -v190
	v_add_f32_e32 v34, v58, v34
	v_fma_f32 v58, 0xbf7ba420, v64, -v89
	v_fmac_f32_e32 v77, 0x3ee437d1, v70
	v_add_f32_e32 v53, v53, v57
	v_add_f32_e32 v48, v59, v48
	v_fma_f32 v59, 0x3f3d2fb0, v68, -v179
	v_add_f32_e32 v47, v58, v47
	v_fma_f32 v58, 0x3f6eb680, v64, -v147
	v_add_f32_e32 v49, v125, v49
	v_add_f32_e32 v57, v189, v61
	;; [unrolled: 1-line block ×4, first 2 shown]
	v_fmac_f32_e32 v119, 0xbf1a4643, v70
	v_fmac_f32_e32 v138, 0xbf7ba420, v70
	v_fmac_f32_e32 v162, 0xbe8c1d8e, v70
	v_fma_f32 v61, 0x3f6eb680, v68, -v188
	v_fmac_f32_e32 v71, 0x3dbcf732, v63
	v_add_f32_e32 v53, v59, v53
	v_fma_f32 v59, 0xbe8c1d8e, v64, -v127
	v_add_f32_e32 v52, v58, v52
	v_fma_f32 v58, 0xbe8c1d8e, v44, -v67
	v_add_f32_e32 v49, v119, v49
	v_add_f32_e32 v50, v138, v50
	;; [unrolled: 1-line block ×5, first 2 shown]
	v_fmac_f32_e32 v90, 0xbf7ba420, v63
	v_fmac_f32_e32 v132, 0xbe8c1d8e, v63
	;; [unrolled: 1-line block ×3, first 2 shown]
	v_add_f32_e32 v48, v59, v48
	v_fma_f32 v59, 0x3ee437d1, v64, -v175
	v_fma_f32 v61, 0xbf59a7d5, v64, -v186
	v_fmac_f32_e32 v66, 0xbe8c1d8e, v45
	v_add_f32_e32 v34, v58, v34
	v_fma_f32 v58, 0xbf59a7d5, v44, -v85
	v_fmac_f32_e32 v187, 0x3f6eb680, v70
	v_add_f32_e32 v49, v90, v49
	v_add_f32_e32 v50, v132, v50
	;; [unrolled: 1-line block ×6, first 2 shown]
	v_fmac_f32_e32 v86, 0xbf59a7d5, v45
	v_fmac_f32_e32 v121, 0x3f3d2fb0, v45
	v_fma_f32 v59, 0x3f3d2fb0, v44, -v120
	v_fmac_f32_e32 v141, 0x3ee437d1, v45
	v_add_f32_e32 v47, v58, v47
	v_fma_f32 v58, 0x3ee437d1, v44, -v139
	v_fmac_f32_e32 v169, 0xbf7ba420, v45
	v_fmac_f32_e32 v181, 0x3dbcf732, v45
	v_fma_f32 v45, 0xbf7ba420, v44, -v168
	v_fma_f32 v44, 0x3dbcf732, v44, -v182
	v_fmac_f32_e32 v46, 0xbf1a4643, v40
	v_fma_f32 v56, 0xbf1a4643, v41, -v56
	v_fmac_f32_e32 v180, 0x3f3d2fb0, v70
	v_add_f32_e32 v57, v187, v57
	v_fmac_f32_e32 v185, 0xbf59a7d5, v63
	v_add_f32_e32 v49, v86, v49
	v_add_f32_e32 v50, v121, v50
	;; [unrolled: 1-line block ×7, first 2 shown]
	v_fmac_f32_e32 v80, 0xbe8c1d8e, v40
	v_fma_f32 v46, 0xbe8c1d8e, v41, -v79
	v_fmac_f32_e32 v115, 0x3f6eb680, v40
	v_fma_f32 v54, 0x3f6eb680, v41, -v91
	;; [unrolled: 2-line block ×3, first 2 shown]
	v_add_f32_e32 v55, v180, v55
	v_fmac_f32_e32 v176, 0x3ee437d1, v63
	v_add_f32_e32 v57, v185, v57
	v_add_f32_e32 v49, v80, v49
	;; [unrolled: 1-line block ×6, first 2 shown]
	v_fma_f32 v51, 0xbf59a7d5, v41, -v133
	v_fmac_f32_e32 v153, 0x3dbcf732, v40
	v_fmac_f32_e32 v177, 0x3f3d2fb0, v40
	v_fma_f32 v40, 0x3dbcf732, v41, -v152
	v_fma_f32 v41, 0x3f3d2fb0, v41, -v178
	v_fmac_f32_e32 v42, 0xbf59a7d5, v25
	v_add_f32_e32 v34, v43, v34
	v_fmac_f32_e32 v73, 0x3ee437d1, v25
	v_fma_f32 v43, 0x3dbcf732, v24, -v87
	v_add_f32_e32 v55, v176, v55
	v_add_f32_e32 v45, v45, v53
	;; [unrolled: 1-line block ×5, first 2 shown]
	v_fma_f32 v42, 0x3ee437d1, v24, -v72
	v_fmac_f32_e32 v88, 0x3dbcf732, v25
	v_fmac_f32_e32 v126, 0xbf1a4643, v25
	v_add_f32_e32 v44, v73, v49
	v_add_f32_e32 v43, v43, v48
	v_fma_f32 v48, 0xbf1a4643, v24, -v123
	v_fma_f32 v49, 0x3f6eb680, v24, -v143
	;; [unrolled: 1-line block ×3, first 2 shown]
	v_add_f32_e32 v52, v58, v52
	v_add_f32_e32 v55, v169, v55
	v_add_f32_e32 v40, v40, v45
	v_add_f32_e32 v45, v177, v53
	v_add_f32_e32 v42, v42, v46
	v_add_f32_e32 v46, v88, v47
	v_add_f32_e32 v47, v126, v50
	v_fmac_f32_e32 v144, 0x3f6eb680, v25
	v_fmac_f32_e32 v170, 0xbf7ba420, v25
	v_fma_f32 v25, 0xbf7ba420, v22, -v27
	v_add_f32_e32 v24, v24, v41
	v_fma_f32 v41, 0x3f6eb680, v22, -v60
	v_fmac_f32_e32 v84, 0xbf59a7d5, v23
	v_fmac_f32_e32 v122, 0x3f3d2fb0, v23
	v_add_f32_e32 v51, v51, v52
	v_add_f32_e32 v52, v153, v55
	;; [unrolled: 1-line block ×3, first 2 shown]
	v_fmac_f32_e32 v39, 0xbf7ba420, v23
	v_fmac_f32_e32 v69, 0x3f6eb680, v23
	v_add_f32_e32 v27, v170, v45
	v_add_f32_e32 v34, v25, v34
	v_fma_f32 v25, 0x3ee437d1, v22, -v171
	v_add_f32_e32 v41, v41, v42
	v_add_f32_e32 v42, v84, v46
	;; [unrolled: 1-line block ×3, first 2 shown]
	v_fma_f32 v46, 0xbf59a7d5, v22, -v81
	v_fma_f32 v47, 0x3f3d2fb0, v22, -v117
	s_waitcnt vmcnt(10)
	v_mul_f32_e32 v49, v30, v1
	v_fma_f32 v22, 0xbf1a4643, v22, -v135
	v_add_f32_e32 v50, v144, v52
	v_add_f32_e32 v33, v39, v33
	;; [unrolled: 1-line block ×3, first 2 shown]
	v_fmac_f32_e32 v167, 0x3ee437d1, v23
	v_add_f32_e32 v44, v25, v24
	v_mul_f32_e32 v1, v26, v1
	v_fmac_f32_e32 v49, v0, v26
	v_fmac_f32_e32 v136, 0xbf1a4643, v23
	v_add_f32_e32 v22, v22, v40
	v_add_f32_e32 v24, v167, v27
	v_mul_f32_e32 v27, v44, v32
	v_fma_f32 v23, v0, v30, -v1
	s_waitcnt vmcnt(9)
	v_mul_f32_e32 v0, v28, v5
	v_add_f32_e32 v1, v136, v50
	v_mul_f32_e32 v26, v22, v49
	v_add_f32_e32 v48, v48, v51
	v_mul_f32_e32 v25, v24, v32
	v_fma_f32 v24, v24, v31, -v27
	v_mul_f32_e32 v5, v29, v5
	v_fma_f32 v27, v4, v29, -v0
	v_fma_f32 v0, v1, v23, -v26
	s_waitcnt vmcnt(7)
	v_mul_f32_e32 v26, v3, v7
	v_mul_f32_e32 v7, v2, v7
	v_fmac_f32_e32 v5, v4, v28
	v_add_f32_e32 v4, v47, v48
	v_mul_f32_e32 v1, v1, v49
	v_fma_f32 v26, v2, v6, -v26
	v_fmac_f32_e32 v7, v3, v6
	v_mul_f32_e32 v3, v45, v5
	v_mul_f32_e32 v2, v4, v5
	v_fmac_f32_e32 v1, v22, v23
	v_add_f32_e32 v28, v46, v43
	v_fmac_f32_e32 v25, v44, v31
	s_waitcnt vmcnt(6)
	v_mul_f32_e32 v5, v26, v114
	v_mul_f32_e32 v6, v7, v114
	v_fmac_f32_e32 v3, v4, v27
	s_waitcnt vmcnt(4)
	v_mul_f32_e32 v4, v192, v194
	v_fma_f32 v2, v45, v27, -v2
	v_fmac_f32_e32 v5, v113, v7
	s_waitcnt vmcnt(2)
	v_mul_f32_e32 v7, v196, v198
	v_fma_f32 v6, v113, v26, -v6
	v_mul_f32_e32 v22, v191, v194
	v_fma_f32 v23, v191, v193, -v4
	;; [unrolled: 2-line block ×3, first 2 shown]
	v_mul_f32_e32 v4, v28, v5
	v_fmac_f32_e32 v22, v192, v193
	s_waitcnt vmcnt(1)
	v_mul_f32_e32 v7, v23, v200
	v_fmac_f32_e32 v26, v196, v197
	s_waitcnt vmcnt(0)
	v_mul_f32_e32 v29, v27, v156
	v_mul_f32_e32 v5, v42, v5
	;; [unrolled: 1-line block ×3, first 2 shown]
	v_fmac_f32_e32 v7, v199, v22
	v_mul_f32_e32 v22, v26, v156
	v_fmac_f32_e32 v29, v155, v26
	v_fma_f32 v4, v42, v6, -v4
	v_fma_f32 v26, v199, v23, -v30
	v_mul_f32_e32 v30, v41, v7
	v_mul_f32_e32 v7, v39, v7
	v_fma_f32 v27, v155, v27, -v22
	v_mul_f32_e32 v22, v34, v29
	v_mul_f32_e32 v23, v33, v29
	v_fmac_f32_e32 v5, v28, v6
	v_fma_f32 v6, v39, v26, -v30
	v_fmac_f32_e32 v7, v41, v26
	v_fma_f32 v22, v33, v27, -v22
	v_fmac_f32_e32 v23, v34, v27
	s_barrier
	buffer_gl0_inv
	ds_write2_b64 v112, v[8:9], v[10:11] offset1:17
	ds_write2_b64 v112, v[12:13], v[14:15] offset0:34 offset1:51
	ds_write2_b64 v112, v[16:17], v[18:19] offset0:68 offset1:85
	;; [unrolled: 1-line block ×7, first 2 shown]
	ds_write_b64 v112, v[22:23] offset:2176
	s_waitcnt lgkmcnt(0)
	s_barrier
	buffer_gl0_inv
	s_and_saveexec_b32 s8, s10
	s_cbranch_execz .LBB0_16
; %bb.15:
	v_mad_u64_u32 v[4:5], null, s2, v110, 0
	v_mad_u64_u32 v[6:7], null, s0, v108, 0
	v_add3_u32 v18, 0, v111, v109
	v_mad_u64_u32 v[8:9], null, s0, v107, 0
	s_lshl_b64 s[6:7], s[6:7], 3
	v_mov_b32_e32 v0, v5
	s_add_u32 s2, s4, s6
	v_mov_b32_e32 v1, v7
	v_mad_u64_u32 v[2:3], null, s3, v110, v[0:1]
	s_addc_u32 s3, s5, s7
	v_mad_u64_u32 v[10:11], null, s1, v108, v[1:2]
	v_mad_u64_u32 v[11:12], null, s0, v106, 0
	v_mov_b32_e32 v5, v2
	ds_read2_b64 v[0:3], v18 offset1:17
	v_mov_b32_e32 v7, v10
	v_lshlrev_b64 v[4:5], 3, v[4:5]
	v_mov_b32_e32 v10, v12
	v_lshlrev_b64 v[6:7], 3, v[6:7]
	v_mad_u64_u32 v[12:13], null, s1, v107, v[9:10]
	v_add_co_u32 v20, vcc_lo, s2, v4
	v_add_co_ci_u32_e32 v21, vcc_lo, s3, v5, vcc_lo
	v_mad_u64_u32 v[4:5], null, s1, v106, v[10:11]
	v_add_co_u32 v5, vcc_lo, v20, v6
	v_add_co_ci_u32_e32 v6, vcc_lo, v21, v7, vcc_lo
	v_mad_u64_u32 v[13:14], null, s0, v105, 0
	v_mov_b32_e32 v9, v12
	s_waitcnt lgkmcnt(0)
	global_store_dwordx2 v[5:6], v[0:1], off
	v_mov_b32_e32 v12, v4
	ds_read2_b64 v[4:7], v18 offset0:34 offset1:51
	v_lshlrev_b64 v[0:1], 3, v[8:9]
	v_mad_u64_u32 v[9:10], null, s0, v104, 0
	v_mov_b32_e32 v8, v14
	v_lshlrev_b64 v[11:12], 3, v[11:12]
	v_add_co_u32 v0, vcc_lo, v20, v0
	v_add_co_ci_u32_e32 v1, vcc_lo, v21, v1, vcc_lo
	v_mad_u64_u32 v[14:15], null, s1, v105, v[8:9]
	v_mov_b32_e32 v8, v10
	v_add_co_u32 v10, vcc_lo, v20, v11
	v_add_co_ci_u32_e32 v11, vcc_lo, v21, v12, vcc_lo
	v_mad_u64_u32 v[15:16], null, s1, v104, v[8:9]
	v_mad_u64_u32 v[16:17], null, s0, v103, 0
	global_store_dwordx2 v[0:1], v[2:3], off
	s_waitcnt lgkmcnt(0)
	global_store_dwordx2 v[10:11], v[4:5], off
	v_lshlrev_b64 v[4:5], 3, v[13:14]
	ds_read2_b64 v[0:3], v18 offset0:68 offset1:85
	v_mad_u64_u32 v[11:12], null, s0, v102, 0
	v_mov_b32_e32 v10, v15
	v_mov_b32_e32 v8, v17
	v_add_co_u32 v4, vcc_lo, v20, v4
	v_add_co_ci_u32_e32 v5, vcc_lo, v21, v5, vcc_lo
	v_lshlrev_b64 v[9:10], 3, v[9:10]
	v_mad_u64_u32 v[13:14], null, s1, v103, v[8:9]
	v_mov_b32_e32 v8, v12
	v_add_co_u32 v9, vcc_lo, v20, v9
	v_add_co_ci_u32_e32 v10, vcc_lo, v21, v10, vcc_lo
	global_store_dwordx2 v[4:5], v[6:7], off
	s_waitcnt lgkmcnt(0)
	global_store_dwordx2 v[9:10], v[0:1], off
	v_mov_b32_e32 v17, v13
	v_mad_u64_u32 v[12:13], null, s1, v102, v[8:9]
	v_mad_u64_u32 v[13:14], null, s0, v101, 0
	;; [unrolled: 1-line block ×3, first 2 shown]
	ds_read2_b64 v[4:7], v18 offset0:102 offset1:119
	v_lshlrev_b64 v[0:1], 3, v[16:17]
	v_lshlrev_b64 v[11:12], 3, v[11:12]
	v_mov_b32_e32 v8, v14
	v_add_co_u32 v0, vcc_lo, v20, v0
	v_mad_u64_u32 v[14:15], null, s1, v101, v[8:9]
	v_mov_b32_e32 v8, v10
	v_add_co_ci_u32_e32 v1, vcc_lo, v21, v1, vcc_lo
	v_add_co_u32 v10, vcc_lo, v20, v11
	v_mad_u64_u32 v[15:16], null, s1, v100, v[8:9]
	v_add_co_ci_u32_e32 v11, vcc_lo, v21, v12, vcc_lo
	v_mad_u64_u32 v[16:17], null, s0, v99, 0
	global_store_dwordx2 v[0:1], v[2:3], off
	s_waitcnt lgkmcnt(0)
	global_store_dwordx2 v[10:11], v[4:5], off
	ds_read2_b64 v[0:3], v18 offset0:136 offset1:153
	v_mov_b32_e32 v10, v15
	v_lshlrev_b64 v[4:5], 3, v[13:14]
	v_mad_u64_u32 v[11:12], null, s0, v98, 0
	v_mov_b32_e32 v8, v17
	v_lshlrev_b64 v[9:10], 3, v[9:10]
	v_add_co_u32 v4, vcc_lo, v20, v4
	v_add_co_ci_u32_e32 v5, vcc_lo, v21, v5, vcc_lo
	v_mad_u64_u32 v[13:14], null, s1, v99, v[8:9]
	v_mad_u64_u32 v[14:15], null, s0, v97, 0
	v_add_co_u32 v9, vcc_lo, v20, v9
	global_store_dwordx2 v[4:5], v[6:7], off
	v_add_co_ci_u32_e32 v10, vcc_lo, v21, v10, vcc_lo
	v_mov_b32_e32 v17, v13
	v_mov_b32_e32 v4, v15
                                        ; kill: def $vgpr5 killed $sgpr0 killed $exec
	v_mov_b32_e32 v8, v12
	s_waitcnt lgkmcnt(0)
	global_store_dwordx2 v[9:10], v[0:1], off
	v_lshlrev_b64 v[0:1], 3, v[16:17]
	v_mad_u64_u32 v[4:5], null, s1, v97, v[4:5]
	v_mad_u64_u32 v[12:13], null, s1, v98, v[8:9]
	;; [unrolled: 1-line block ×3, first 2 shown]
	v_add_co_u32 v0, vcc_lo, v20, v0
	v_mov_b32_e32 v15, v4
	ds_read2_b64 v[4:7], v18 offset0:170 offset1:187
	v_add_co_ci_u32_e32 v1, vcc_lo, v21, v1, vcc_lo
	v_lshlrev_b64 v[10:11], 3, v[11:12]
	v_mad_u64_u32 v[12:13], null, s0, v95, 0
	global_store_dwordx2 v[0:1], v[2:3], off
	v_mov_b32_e32 v2, v9
	v_lshlrev_b64 v[0:1], 3, v[14:15]
	v_add_co_u32 v10, vcc_lo, v20, v10
	v_add_co_ci_u32_e32 v11, vcc_lo, v21, v11, vcc_lo
	v_mad_u64_u32 v[2:3], null, s1, v96, v[2:3]
	v_add_co_u32 v0, vcc_lo, v20, v0
	v_add_co_ci_u32_e32 v1, vcc_lo, v21, v1, vcc_lo
	s_waitcnt lgkmcnt(0)
	global_store_dwordx2 v[10:11], v[4:5], off
	global_store_dwordx2 v[0:1], v[6:7], off
	v_mov_b32_e32 v9, v2
	ds_read2_b64 v[0:3], v18 offset0:204 offset1:221
	v_mov_b32_e32 v6, v13
	v_lshlrev_b64 v[4:5], 3, v[8:9]
	v_mad_u64_u32 v[7:8], null, s0, v93, 0
	v_mad_u64_u32 v[9:10], null, s0, v94, 0
	v_add_co_u32 v4, vcc_lo, v20, v4
	v_add_co_ci_u32_e32 v5, vcc_lo, v21, v5, vcc_lo
	v_mad_u64_u32 v[13:14], null, s1, v95, v[6:7]
	v_mov_b32_e32 v6, v8
	v_mad_u64_u32 v[14:15], null, s0, v92, 0
	v_mov_b32_e32 v8, v10
	s_waitcnt lgkmcnt(0)
	global_store_dwordx2 v[4:5], v[0:1], off
	v_mad_u64_u32 v[10:11], null, s1, v93, v[6:7]
	v_lshlrev_b64 v[4:5], 3, v[12:13]
	v_mad_u64_u32 v[16:17], null, s1, v94, v[8:9]
	v_mov_b32_e32 v0, v15
	v_mov_b32_e32 v8, v10
	v_add_co_u32 v11, vcc_lo, v20, v4
	v_mad_u64_u32 v[0:1], null, s1, v92, v[0:1]
	v_mov_b32_e32 v10, v16
	v_add_co_ci_u32_e32 v12, vcc_lo, v21, v5, vcc_lo
	v_lshlrev_b64 v[16:17], 3, v[7:8]
	ds_read2_b64 v[4:7], v18 offset0:238 offset1:255
	ds_read_b64 v[18:19], v18 offset:2176
	v_mov_b32_e32 v15, v0
	v_lshlrev_b64 v[8:9], 3, v[9:10]
	v_add_co_u32 v0, vcc_lo, v20, v16
	v_lshlrev_b64 v[13:14], 3, v[14:15]
	v_add_co_ci_u32_e32 v1, vcc_lo, v21, v17, vcc_lo
	v_add_co_u32 v8, vcc_lo, v20, v8
	v_add_co_ci_u32_e32 v9, vcc_lo, v21, v9, vcc_lo
	v_add_co_u32 v13, vcc_lo, v20, v13
	v_add_co_ci_u32_e32 v14, vcc_lo, v21, v14, vcc_lo
	global_store_dwordx2 v[11:12], v[2:3], off
	s_waitcnt lgkmcnt(1)
	global_store_dwordx2 v[0:1], v[4:5], off
	global_store_dwordx2 v[8:9], v[6:7], off
	s_waitcnt lgkmcnt(0)
	global_store_dwordx2 v[13:14], v[18:19], off
.LBB0_16:
	s_endpgm
	.section	.rodata,"a",@progbits
	.p2align	6, 0x0
	.amdhsa_kernel fft_rtc_fwd_len289_factors_17_17_wgs_119_tpt_17_sp_ip_CI_sbcc_twdbase8_3step
		.amdhsa_group_segment_fixed_size 0
		.amdhsa_private_segment_fixed_size 0
		.amdhsa_kernarg_size 96
		.amdhsa_user_sgpr_count 6
		.amdhsa_user_sgpr_private_segment_buffer 1
		.amdhsa_user_sgpr_dispatch_ptr 0
		.amdhsa_user_sgpr_queue_ptr 0
		.amdhsa_user_sgpr_kernarg_segment_ptr 1
		.amdhsa_user_sgpr_dispatch_id 0
		.amdhsa_user_sgpr_flat_scratch_init 0
		.amdhsa_user_sgpr_private_segment_size 0
		.amdhsa_wavefront_size32 1
		.amdhsa_uses_dynamic_stack 0
		.amdhsa_system_sgpr_private_segment_wavefront_offset 0
		.amdhsa_system_sgpr_workgroup_id_x 1
		.amdhsa_system_sgpr_workgroup_id_y 0
		.amdhsa_system_sgpr_workgroup_id_z 0
		.amdhsa_system_sgpr_workgroup_info 0
		.amdhsa_system_vgpr_workitem_id 0
		.amdhsa_next_free_vgpr 221
		.amdhsa_next_free_sgpr 46
		.amdhsa_reserve_vcc 1
		.amdhsa_reserve_flat_scratch 0
		.amdhsa_float_round_mode_32 0
		.amdhsa_float_round_mode_16_64 0
		.amdhsa_float_denorm_mode_32 3
		.amdhsa_float_denorm_mode_16_64 3
		.amdhsa_dx10_clamp 1
		.amdhsa_ieee_mode 1
		.amdhsa_fp16_overflow 0
		.amdhsa_workgroup_processor_mode 1
		.amdhsa_memory_ordered 1
		.amdhsa_forward_progress 0
		.amdhsa_shared_vgpr_count 0
		.amdhsa_exception_fp_ieee_invalid_op 0
		.amdhsa_exception_fp_denorm_src 0
		.amdhsa_exception_fp_ieee_div_zero 0
		.amdhsa_exception_fp_ieee_overflow 0
		.amdhsa_exception_fp_ieee_underflow 0
		.amdhsa_exception_fp_ieee_inexact 0
		.amdhsa_exception_int_div_zero 0
	.end_amdhsa_kernel
	.text
.Lfunc_end0:
	.size	fft_rtc_fwd_len289_factors_17_17_wgs_119_tpt_17_sp_ip_CI_sbcc_twdbase8_3step, .Lfunc_end0-fft_rtc_fwd_len289_factors_17_17_wgs_119_tpt_17_sp_ip_CI_sbcc_twdbase8_3step
                                        ; -- End function
	.section	.AMDGPU.csdata,"",@progbits
; Kernel info:
; codeLenInByte = 17436
; NumSgprs: 48
; NumVgprs: 221
; ScratchSize: 0
; MemoryBound: 0
; FloatMode: 240
; IeeeMode: 1
; LDSByteSize: 0 bytes/workgroup (compile time only)
; SGPRBlocks: 5
; VGPRBlocks: 27
; NumSGPRsForWavesPerEU: 48
; NumVGPRsForWavesPerEU: 221
; Occupancy: 4
; WaveLimiterHint : 1
; COMPUTE_PGM_RSRC2:SCRATCH_EN: 0
; COMPUTE_PGM_RSRC2:USER_SGPR: 6
; COMPUTE_PGM_RSRC2:TRAP_HANDLER: 0
; COMPUTE_PGM_RSRC2:TGID_X_EN: 1
; COMPUTE_PGM_RSRC2:TGID_Y_EN: 0
; COMPUTE_PGM_RSRC2:TGID_Z_EN: 0
; COMPUTE_PGM_RSRC2:TIDIG_COMP_CNT: 0
	.text
	.p2alignl 6, 3214868480
	.fill 48, 4, 3214868480
	.type	__hip_cuid_5fdcfdc292c359f8,@object ; @__hip_cuid_5fdcfdc292c359f8
	.section	.bss,"aw",@nobits
	.globl	__hip_cuid_5fdcfdc292c359f8
__hip_cuid_5fdcfdc292c359f8:
	.byte	0                               ; 0x0
	.size	__hip_cuid_5fdcfdc292c359f8, 1

	.ident	"AMD clang version 19.0.0git (https://github.com/RadeonOpenCompute/llvm-project roc-6.4.0 25133 c7fe45cf4b819c5991fe208aaa96edf142730f1d)"
	.section	".note.GNU-stack","",@progbits
	.addrsig
	.addrsig_sym __hip_cuid_5fdcfdc292c359f8
	.amdgpu_metadata
---
amdhsa.kernels:
  - .args:
      - .actual_access:  read_only
        .address_space:  global
        .offset:         0
        .size:           8
        .value_kind:     global_buffer
      - .address_space:  global
        .offset:         8
        .size:           8
        .value_kind:     global_buffer
      - .offset:         16
        .size:           8
        .value_kind:     by_value
      - .actual_access:  read_only
        .address_space:  global
        .offset:         24
        .size:           8
        .value_kind:     global_buffer
      - .actual_access:  read_only
        .address_space:  global
        .offset:         32
        .size:           8
        .value_kind:     global_buffer
      - .offset:         40
        .size:           8
        .value_kind:     by_value
      - .actual_access:  read_only
        .address_space:  global
        .offset:         48
        .size:           8
        .value_kind:     global_buffer
      - .actual_access:  read_only
        .address_space:  global
        .offset:         56
        .size:           8
        .value_kind:     global_buffer
      - .offset:         64
        .size:           4
        .value_kind:     by_value
      - .actual_access:  read_only
        .address_space:  global
        .offset:         72
        .size:           8
        .value_kind:     global_buffer
      - .actual_access:  read_only
        .address_space:  global
        .offset:         80
        .size:           8
        .value_kind:     global_buffer
      - .address_space:  global
        .offset:         88
        .size:           8
        .value_kind:     global_buffer
    .group_segment_fixed_size: 0
    .kernarg_segment_align: 8
    .kernarg_segment_size: 96
    .language:       OpenCL C
    .language_version:
      - 2
      - 0
    .max_flat_workgroup_size: 119
    .name:           fft_rtc_fwd_len289_factors_17_17_wgs_119_tpt_17_sp_ip_CI_sbcc_twdbase8_3step
    .private_segment_fixed_size: 0
    .sgpr_count:     48
    .sgpr_spill_count: 0
    .symbol:         fft_rtc_fwd_len289_factors_17_17_wgs_119_tpt_17_sp_ip_CI_sbcc_twdbase8_3step.kd
    .uniform_work_group_size: 1
    .uses_dynamic_stack: false
    .vgpr_count:     221
    .vgpr_spill_count: 0
    .wavefront_size: 32
    .workgroup_processor_mode: 1
amdhsa.target:   amdgcn-amd-amdhsa--gfx1030
amdhsa.version:
  - 1
  - 2
...

	.end_amdgpu_metadata
